;; amdgpu-corpus repo=zjin-lcf/HeCBench kind=compiled arch=gfx1250 opt=O3
	.amdgcn_target "amdgcn-amd-amdhsa--gfx1250"
	.amdhsa_code_object_version 6
	.section	.text._Z20test_interval_newtonIdEvP12interval_gpuIT_EPiS2_i,"axG",@progbits,_Z20test_interval_newtonIdEvP12interval_gpuIT_EPiS2_i,comdat
	.protected	_Z20test_interval_newtonIdEvP12interval_gpuIT_EPiS2_i ; -- Begin function _Z20test_interval_newtonIdEvP12interval_gpuIT_EPiS2_i
	.globl	_Z20test_interval_newtonIdEvP12interval_gpuIT_EPiS2_i
	.p2align	8
	.type	_Z20test_interval_newtonIdEvP12interval_gpuIT_EPiS2_i,@function
_Z20test_interval_newtonIdEvP12interval_gpuIT_EPiS2_i: ; @_Z20test_interval_newtonIdEvP12interval_gpuIT_EPiS2_i
; %bb.0:
	s_clause 0x1
	s_load_b32 s13, s[0:1], 0x20
	s_load_b256 s[4:11], s[0:1], 0x0
	s_wait_xcnt 0x0
	s_bfe_u32 s0, ttmp6, 0x4000c
	s_and_b32 s1, ttmp6, 15
	s_add_co_i32 s0, s0, 1
	s_getreg_b32 s2, hwreg(HW_REG_IB_STS2, 6, 4)
	s_mul_i32 s0, ttmp9, s0
	s_mov_b32 s12, 0
	s_add_co_i32 s1, s1, s0
	s_cmp_eq_u32 s2, 0
	s_cselect_b32 s0, ttmp9, s1
	s_delay_alu instid0(SALU_CYCLE_1)
	v_lshl_add_u32 v30, s0, 6, v0
	s_wait_kmcnt 0x0
	s_cmp_lt_i32 s13, 1
	s_cbranch_scc1 .LBB0_97
; %bb.1:
	s_cmp_eq_u32 s13, 1
	s_cbranch_scc0 .LBB0_98
; %bb.2:
	v_cvt_f64_i32_e32 v[0:1], v30
	v_mov_b64_e32 v[2:3], -2.0
	v_dual_mov_b32 v12, -1 :: v_dual_mov_b32 v28, v30
	s_mov_b64 s[2:3], 0x3eb0c6f7a0000000
	s_mov_b32 s14, 0
	s_mov_b32 s15, 0
	s_delay_alu instid0(VALU_DEP_3) | instskip(NEXT) | instid1(VALU_DEP_3)
	v_ldexp_f64 v[8:9], -v[0:1], -16
	v_fmamk_f64 v[10:11], v[0:1], 0xbef00000, v[2:3]
	v_mov_b64_e32 v[0:1], s[8:9]
	v_mov_b64_e32 v[2:3], s[10:11]
	s_branch .LBB0_4
.LBB0_3:                                ;   in Loop: Header=BB0_4 Depth=1
	s_wait_xcnt 0x0
	s_or_b32 exec_lo, exec_lo, s0
	s_delay_alu instid0(SALU_CYCLE_1) | instskip(SKIP_2) | instid1(SALU_CYCLE_1)
	s_and_b32 s0, exec_lo, s1
	s_mov_b32 s15, 0
	s_or_b32 s14, s0, s14
	s_and_not1_b32 exec_lo, exec_lo, s14
	s_cbranch_execz .LBB0_99
.LBB0_4:                                ; =>This Loop Header: Depth=1
                                        ;     Child Loop BB0_6 Depth 2
	v_mov_b32_e32 v29, v12
	s_wait_loadcnt 0x0
	s_delay_alu instid0(VALU_DEP_3) | instskip(NEXT) | instid1(VALU_DEP_3)
	v_mov_b64_e32 v[12:13], v[0:1]
	v_mov_b64_e32 v[14:15], v[2:3]
	s_mov_b32 s17, 0
                                        ; implicit-def: $sgpr16
                                        ; implicit-def: $sgpr18
	s_branch .LBB0_6
.LBB0_5:                                ;   in Loop: Header=BB0_6 Depth=2
	s_or_b32 exec_lo, exec_lo, s0
	s_delay_alu instid0(SALU_CYCLE_1) | instskip(NEXT) | instid1(SALU_CYCLE_1)
	s_and_b32 s0, exec_lo, s1
	s_or_b32 s17, s0, s17
	s_and_not1_b32 s0, s16, exec_lo
	s_and_b32 s1, s18, exec_lo
	s_delay_alu instid0(SALU_CYCLE_1)
	s_or_b32 s16, s0, s1
	s_and_not1_b32 exec_lo, exec_lo, s17
	s_cbranch_execz .LBB0_92
.LBB0_6:                                ;   Parent Loop BB0_4 Depth=1
                                        ; =>  This Inner Loop Header: Depth=2
	s_delay_alu instid0(VALU_DEP_1) | instskip(SKIP_1) | instid1(VALU_DEP_1)
	v_add_f64_e32 v[18:19], v[12:13], v[14:15]
	s_mov_b32 s0, exec_lo
                                        ; implicit-def: $vgpr0_vgpr1
	v_fma_f64 v[6:7], v[18:19], 0.5, -1.0
	s_delay_alu instid0(VALU_DEP_1)
	v_mul_f64_e32 v[4:5], v[6:7], v[6:7]
	v_cmpx_le_f64_e32 0, v[6:7]
	s_xor_b32 s0, exec_lo, s0
; %bb.7:                                ;   in Loop: Header=BB0_6 Depth=2
	v_mul_f64_e32 v[0:1], v[6:7], v[6:7]
                                        ; implicit-def: $vgpr6_vgpr7
                                        ; implicit-def: $vgpr4_vgpr5
; %bb.8:                                ;   in Loop: Header=BB0_6 Depth=2
	s_or_saveexec_b32 s0, s0
	s_delay_alu instid0(VALU_DEP_1)
	v_mov_b64_e32 v[2:3], v[0:1]
	s_xor_b32 exec_lo, exec_lo, s0
	s_cbranch_execz .LBB0_10
; %bb.9:                                ;   in Loop: Header=BB0_6 Depth=2
	v_cmp_ge_f64_e32 vcc_lo, 0, v[6:7]
	v_mov_b64_e32 v[2:3], v[4:5]
	v_dual_cndmask_b32 v1, 0, v5 :: v_dual_cndmask_b32 v0, 0, v4
.LBB0_10:                               ;   in Loop: Header=BB0_6 Depth=2
	s_or_b32 exec_lo, exec_lo, s0
	v_add_f64_e32 v[4:5], v[12:13], v[12:13]
	v_add_f64_e32 v[6:7], v[14:15], v[14:15]
                                        ; implicit-def: $sgpr1
                                        ; implicit-def: $vgpr26_vgpr27
                                        ; implicit-def: $vgpr24_vgpr25
	s_delay_alu instid0(VALU_DEP_1) | instskip(SKIP_1) | instid1(VALU_DEP_2)
	v_min_num_f64_e32 v[16:17], v[4:5], v[6:7]
	v_max_num_f64_e32 v[4:5], v[4:5], v[6:7]
	v_add_f64_e32 v[20:21], v[10:11], v[16:17]
	s_delay_alu instid0(VALU_DEP_2) | instskip(SKIP_1) | instid1(VALU_DEP_3)
	v_add_f64_e32 v[22:23], v[10:11], v[4:5]
	v_mul_f64_e32 v[16:17], 0.5, v[18:19]
	v_cmp_ge_f64_e32 vcc_lo, 0, v[20:21]
	s_delay_alu instid0(VALU_DEP_3) | instskip(NEXT) | instid1(VALU_DEP_3)
	v_cmp_le_f64_e64 s0, 0, v[22:23]
	v_fmac_f64_e32 v[0:1], v[8:9], v[16:17]
	v_fmac_f64_e32 v[2:3], v[8:9], v[16:17]
	s_and_b32 s0, vcc_lo, s0
	s_delay_alu instid0(SALU_CYCLE_1) | instskip(NEXT) | instid1(SALU_CYCLE_1)
	s_and_saveexec_b32 s19, s0
	s_xor_b32 s19, exec_lo, s19
	s_cbranch_execz .LBB0_46
; %bb.11:                               ;   in Loop: Header=BB0_6 Depth=2
	v_cmp_eq_f64_e64 s0, 0, v[22:23]
	s_mov_b32 s20, exec_lo
	v_cmp_neq_f64_e32 vcc_lo, 0, v[22:23]
                                        ; implicit-def: $vgpr26_vgpr27
                                        ; implicit-def: $vgpr24_vgpr25
	v_cmpx_eq_f64_e32 0, v[20:21]
	s_xor_b32 s20, exec_lo, s20
	s_cbranch_execz .LBB0_23
; %bb.12:                               ;   in Loop: Header=BB0_6 Depth=2
	v_mov_b64_e32 v[26:27], 0x7ff8000000000000
	v_mov_b64_e32 v[24:25], 0x7ff8000000000000
	s_and_saveexec_b32 s21, vcc_lo
	s_cbranch_execz .LBB0_22
; %bb.13:                               ;   in Loop: Header=BB0_6 Depth=2
	v_cmp_neq_f64_e32 vcc_lo, 0, v[0:1]
	v_cmp_neq_f64_e64 s1, 0, v[2:3]
	v_mov_b64_e32 v[26:27], v[0:1]
	v_mov_b64_e32 v[24:25], v[2:3]
	s_or_b32 s22, vcc_lo, s1
	s_delay_alu instid0(SALU_CYCLE_1)
	s_and_saveexec_b32 s1, s22
	s_cbranch_execz .LBB0_21
; %bb.14:                               ;   in Loop: Header=BB0_6 Depth=2
	s_mov_b32 s22, exec_lo
                                        ; implicit-def: $vgpr26_vgpr27
	v_cmpx_ngt_f64_e32 0, v[2:3]
	s_xor_b32 s22, exec_lo, s22
	s_cbranch_execz .LBB0_18
; %bb.15:                               ;   in Loop: Header=BB0_6 Depth=2
	v_mov_b64_e32 v[26:27], 0xfff0000000000000
	s_mov_b32 s23, exec_lo
	v_cmpx_ngt_f64_e32 0, v[0:1]
	s_cbranch_execz .LBB0_17
; %bb.16:                               ;   in Loop: Header=BB0_6 Depth=2
	v_div_scale_f64 v[4:5], null, v[22:23], v[22:23], v[0:1]
	s_delay_alu instid0(VALU_DEP_1) | instskip(SKIP_1) | instid1(TRANS32_DEP_1)
	v_rcp_f64_e32 v[6:7], v[4:5]
	v_nop
	v_fma_f64 v[24:25], -v[4:5], v[6:7], 1.0
	s_delay_alu instid0(VALU_DEP_1) | instskip(NEXT) | instid1(VALU_DEP_1)
	v_fmac_f64_e32 v[6:7], v[6:7], v[24:25]
	v_fma_f64 v[24:25], -v[4:5], v[6:7], 1.0
	s_delay_alu instid0(VALU_DEP_1) | instskip(SKIP_1) | instid1(VALU_DEP_1)
	v_fmac_f64_e32 v[6:7], v[6:7], v[24:25]
	v_div_scale_f64 v[24:25], vcc_lo, v[0:1], v[22:23], v[0:1]
	v_mul_f64_e32 v[26:27], v[24:25], v[6:7]
	s_delay_alu instid0(VALU_DEP_1) | instskip(NEXT) | instid1(VALU_DEP_1)
	v_fma_f64 v[4:5], -v[4:5], v[26:27], v[24:25]
	v_div_fmas_f64 v[4:5], v[4:5], v[6:7], v[26:27]
	s_delay_alu instid0(VALU_DEP_1)
	v_div_fixup_f64 v[26:27], v[4:5], v[22:23], v[0:1]
.LBB0_17:                               ;   in Loop: Header=BB0_6 Depth=2
	s_or_b32 exec_lo, exec_lo, s23
.LBB0_18:                               ;   in Loop: Header=BB0_6 Depth=2
	s_or_saveexec_b32 s22, s22
	v_mov_b64_e32 v[24:25], 0x7ff0000000000000
	s_xor_b32 exec_lo, exec_lo, s22
	s_cbranch_execz .LBB0_20
; %bb.19:                               ;   in Loop: Header=BB0_6 Depth=2
	v_div_scale_f64 v[4:5], null, v[22:23], v[22:23], v[2:3]
	s_delay_alu instid0(VALU_DEP_1) | instskip(SKIP_1) | instid1(TRANS32_DEP_1)
	v_rcp_f64_e32 v[6:7], v[4:5]
	v_nop
	v_fma_f64 v[24:25], -v[4:5], v[6:7], 1.0
	s_delay_alu instid0(VALU_DEP_1) | instskip(NEXT) | instid1(VALU_DEP_1)
	v_fmac_f64_e32 v[6:7], v[6:7], v[24:25]
	v_fma_f64 v[24:25], -v[4:5], v[6:7], 1.0
	s_delay_alu instid0(VALU_DEP_1) | instskip(SKIP_1) | instid1(VALU_DEP_1)
	v_fmac_f64_e32 v[6:7], v[6:7], v[24:25]
	v_div_scale_f64 v[24:25], vcc_lo, v[2:3], v[22:23], v[2:3]
	v_mul_f64_e32 v[26:27], v[24:25], v[6:7]
	s_delay_alu instid0(VALU_DEP_1) | instskip(NEXT) | instid1(VALU_DEP_1)
	v_fma_f64 v[4:5], -v[4:5], v[26:27], v[24:25]
	v_div_fmas_f64 v[4:5], v[4:5], v[6:7], v[26:27]
	v_mov_b64_e32 v[26:27], 0xfff0000000000000
	s_delay_alu instid0(VALU_DEP_2)
	v_div_fixup_f64 v[24:25], v[4:5], v[22:23], v[2:3]
.LBB0_20:                               ;   in Loop: Header=BB0_6 Depth=2
	s_or_b32 exec_lo, exec_lo, s22
.LBB0_21:                               ;   in Loop: Header=BB0_6 Depth=2
	s_delay_alu instid0(SALU_CYCLE_1)
	s_or_b32 exec_lo, exec_lo, s1
.LBB0_22:                               ;   in Loop: Header=BB0_6 Depth=2
	s_delay_alu instid0(SALU_CYCLE_1)
	s_or_b32 exec_lo, exec_lo, s21
.LBB0_23:                               ;   in Loop: Header=BB0_6 Depth=2
	s_or_saveexec_b32 s20, s20
	s_mov_b32 s1, 0
	s_xor_b32 exec_lo, exec_lo, s20
	s_cbranch_execz .LBB0_45
; %bb.24:                               ;   in Loop: Header=BB0_6 Depth=2
	v_cmp_neq_f64_e32 vcc_lo, 0, v[0:1]
	v_cmp_neq_f64_e64 s1, 0, v[2:3]
                                        ; implicit-def: $vgpr26_vgpr27
                                        ; implicit-def: $vgpr24_vgpr25
	s_or_b32 s1, vcc_lo, s1
	s_and_saveexec_b32 s21, s0
	s_delay_alu instid0(SALU_CYCLE_1)
	s_xor_b32 s0, exec_lo, s21
	s_cbranch_execz .LBB0_34
; %bb.25:                               ;   in Loop: Header=BB0_6 Depth=2
	v_mov_b64_e32 v[26:27], v[0:1]
	v_mov_b64_e32 v[24:25], v[2:3]
	s_and_saveexec_b32 s21, s1
	s_cbranch_execz .LBB0_33
; %bb.26:                               ;   in Loop: Header=BB0_6 Depth=2
	s_mov_b32 s22, exec_lo
                                        ; implicit-def: $vgpr24_vgpr25
	v_cmpx_ngt_f64_e32 0, v[2:3]
	s_xor_b32 s22, exec_lo, s22
	s_cbranch_execz .LBB0_30
; %bb.27:                               ;   in Loop: Header=BB0_6 Depth=2
	v_mov_b64_e32 v[24:25], 0x7ff0000000000000
	s_mov_b32 s23, exec_lo
	v_cmpx_ngt_f64_e32 0, v[0:1]
	s_cbranch_execz .LBB0_29
; %bb.28:                               ;   in Loop: Header=BB0_6 Depth=2
	v_div_scale_f64 v[4:5], null, v[20:21], v[20:21], v[0:1]
	s_delay_alu instid0(VALU_DEP_1) | instskip(SKIP_1) | instid1(TRANS32_DEP_1)
	v_rcp_f64_e32 v[6:7], v[4:5]
	v_nop
	v_fma_f64 v[24:25], -v[4:5], v[6:7], 1.0
	s_delay_alu instid0(VALU_DEP_1) | instskip(NEXT) | instid1(VALU_DEP_1)
	v_fmac_f64_e32 v[6:7], v[6:7], v[24:25]
	v_fma_f64 v[24:25], -v[4:5], v[6:7], 1.0
	s_delay_alu instid0(VALU_DEP_1) | instskip(SKIP_1) | instid1(VALU_DEP_1)
	v_fmac_f64_e32 v[6:7], v[6:7], v[24:25]
	v_div_scale_f64 v[24:25], vcc_lo, v[0:1], v[20:21], v[0:1]
	v_mul_f64_e32 v[26:27], v[24:25], v[6:7]
	s_delay_alu instid0(VALU_DEP_1) | instskip(NEXT) | instid1(VALU_DEP_1)
	v_fma_f64 v[4:5], -v[4:5], v[26:27], v[24:25]
	v_div_fmas_f64 v[4:5], v[4:5], v[6:7], v[26:27]
	s_delay_alu instid0(VALU_DEP_1)
	v_div_fixup_f64 v[24:25], v[4:5], v[20:21], v[0:1]
.LBB0_29:                               ;   in Loop: Header=BB0_6 Depth=2
	s_or_b32 exec_lo, exec_lo, s23
.LBB0_30:                               ;   in Loop: Header=BB0_6 Depth=2
	s_or_saveexec_b32 s22, s22
	v_mov_b64_e32 v[26:27], 0xfff0000000000000
	s_xor_b32 exec_lo, exec_lo, s22
	s_cbranch_execz .LBB0_32
; %bb.31:                               ;   in Loop: Header=BB0_6 Depth=2
	v_div_scale_f64 v[4:5], null, v[20:21], v[20:21], v[2:3]
	s_delay_alu instid0(VALU_DEP_1) | instskip(SKIP_1) | instid1(TRANS32_DEP_1)
	v_rcp_f64_e32 v[6:7], v[4:5]
	v_nop
	v_fma_f64 v[24:25], -v[4:5], v[6:7], 1.0
	s_delay_alu instid0(VALU_DEP_1) | instskip(NEXT) | instid1(VALU_DEP_1)
	v_fmac_f64_e32 v[6:7], v[6:7], v[24:25]
	v_fma_f64 v[24:25], -v[4:5], v[6:7], 1.0
	s_delay_alu instid0(VALU_DEP_1) | instskip(SKIP_1) | instid1(VALU_DEP_1)
	v_fmac_f64_e32 v[6:7], v[6:7], v[24:25]
	v_div_scale_f64 v[24:25], vcc_lo, v[2:3], v[20:21], v[2:3]
	v_mul_f64_e32 v[26:27], v[24:25], v[6:7]
	s_delay_alu instid0(VALU_DEP_1) | instskip(SKIP_1) | instid1(VALU_DEP_2)
	v_fma_f64 v[4:5], -v[4:5], v[26:27], v[24:25]
	v_mov_b64_e32 v[24:25], 0x7ff0000000000000
	v_div_fmas_f64 v[4:5], v[4:5], v[6:7], v[26:27]
	s_delay_alu instid0(VALU_DEP_1)
	v_div_fixup_f64 v[26:27], v[4:5], v[20:21], v[2:3]
.LBB0_32:                               ;   in Loop: Header=BB0_6 Depth=2
	s_or_b32 exec_lo, exec_lo, s22
.LBB0_33:                               ;   in Loop: Header=BB0_6 Depth=2
	s_delay_alu instid0(SALU_CYCLE_1)
	s_or_b32 exec_lo, exec_lo, s21
.LBB0_34:                               ;   in Loop: Header=BB0_6 Depth=2
	s_or_saveexec_b32 s0, s0
	s_mov_b32 s21, 0
	s_xor_b32 exec_lo, exec_lo, s0
	s_cbranch_execz .LBB0_44
; %bb.35:                               ;   in Loop: Header=BB0_6 Depth=2
	v_mov_b64_e32 v[26:27], v[0:1]
	v_mov_b64_e32 v[24:25], v[2:3]
	s_mov_b32 s22, 0
	s_and_saveexec_b32 s21, s1
	s_cbranch_execz .LBB0_43
; %bb.36:                               ;   in Loop: Header=BB0_6 Depth=2
	s_mov_b32 s22, exec_lo
                                        ; implicit-def: $sgpr1
                                        ; implicit-def: $vgpr24_vgpr25
	v_cmpx_ngt_f64_e32 0, v[2:3]
	s_xor_b32 s22, exec_lo, s22
	s_cbranch_execz .LBB0_40
; %bb.37:                               ;   in Loop: Header=BB0_6 Depth=2
	v_mov_b64_e32 v[24:25], 0x7ff0000000000000
	s_mov_b32 s1, 0
	s_mov_b32 s23, exec_lo
	v_cmpx_ngt_f64_e32 0, v[0:1]
	s_cbranch_execz .LBB0_39
; %bb.38:                               ;   in Loop: Header=BB0_6 Depth=2
	v_div_scale_f64 v[4:5], null, v[20:21], v[20:21], v[0:1]
	s_mov_b32 s1, exec_lo
	v_rcp_f64_e32 v[6:7], v[4:5]
	v_nop
	s_delay_alu instid0(TRANS32_DEP_1) | instskip(NEXT) | instid1(VALU_DEP_1)
	v_fma_f64 v[24:25], -v[4:5], v[6:7], 1.0
	v_fmac_f64_e32 v[6:7], v[6:7], v[24:25]
	s_delay_alu instid0(VALU_DEP_1) | instskip(NEXT) | instid1(VALU_DEP_1)
	v_fma_f64 v[24:25], -v[4:5], v[6:7], 1.0
	v_fmac_f64_e32 v[6:7], v[6:7], v[24:25]
	v_div_scale_f64 v[24:25], vcc_lo, v[0:1], v[20:21], v[0:1]
	s_delay_alu instid0(VALU_DEP_1) | instskip(NEXT) | instid1(VALU_DEP_1)
	v_mul_f64_e32 v[26:27], v[24:25], v[6:7]
	v_fma_f64 v[4:5], -v[4:5], v[26:27], v[24:25]
	s_delay_alu instid0(VALU_DEP_1) | instskip(NEXT) | instid1(VALU_DEP_1)
	v_div_fmas_f64 v[4:5], v[4:5], v[6:7], v[26:27]
	v_div_fixup_f64 v[24:25], v[4:5], v[20:21], v[0:1]
.LBB0_39:                               ;   in Loop: Header=BB0_6 Depth=2
	s_or_b32 exec_lo, exec_lo, s23
.LBB0_40:                               ;   in Loop: Header=BB0_6 Depth=2
	s_and_not1_saveexec_b32 s22, s22
	s_cbranch_execz .LBB0_42
; %bb.41:                               ;   in Loop: Header=BB0_6 Depth=2
	v_div_scale_f64 v[4:5], null, v[22:23], v[22:23], v[2:3]
	s_or_b32 s1, s1, exec_lo
	v_rcp_f64_e32 v[6:7], v[4:5]
	v_nop
	s_delay_alu instid0(TRANS32_DEP_1) | instskip(NEXT) | instid1(VALU_DEP_1)
	v_fma_f64 v[24:25], -v[4:5], v[6:7], 1.0
	v_fmac_f64_e32 v[6:7], v[6:7], v[24:25]
	s_delay_alu instid0(VALU_DEP_1) | instskip(NEXT) | instid1(VALU_DEP_1)
	v_fma_f64 v[24:25], -v[4:5], v[6:7], 1.0
	v_fmac_f64_e32 v[6:7], v[6:7], v[24:25]
	v_div_scale_f64 v[24:25], vcc_lo, v[2:3], v[22:23], v[2:3]
	s_delay_alu instid0(VALU_DEP_1) | instskip(NEXT) | instid1(VALU_DEP_1)
	v_mul_f64_e32 v[26:27], v[24:25], v[6:7]
	v_fma_f64 v[4:5], -v[4:5], v[26:27], v[24:25]
	s_delay_alu instid0(VALU_DEP_1) | instskip(NEXT) | instid1(VALU_DEP_1)
	v_div_fmas_f64 v[4:5], v[4:5], v[6:7], v[26:27]
	v_div_fixup_f64 v[24:25], v[4:5], v[22:23], v[2:3]
.LBB0_42:                               ;   in Loop: Header=BB0_6 Depth=2
	s_or_b32 exec_lo, exec_lo, s22
	v_mov_b64_e32 v[26:27], 0xfff0000000000000
	s_and_b32 s22, s1, exec_lo
.LBB0_43:                               ;   in Loop: Header=BB0_6 Depth=2
	s_or_b32 exec_lo, exec_lo, s21
	s_delay_alu instid0(SALU_CYCLE_1)
	s_and_b32 s21, s22, exec_lo
.LBB0_44:                               ;   in Loop: Header=BB0_6 Depth=2
	s_or_b32 exec_lo, exec_lo, s0
	s_delay_alu instid0(SALU_CYCLE_1)
	s_and_b32 s1, s21, exec_lo
.LBB0_45:                               ;   in Loop: Header=BB0_6 Depth=2
	s_or_b32 exec_lo, exec_lo, s20
.LBB0_46:                               ;   in Loop: Header=BB0_6 Depth=2
	s_and_not1_saveexec_b32 s19, s19
	s_cbranch_execz .LBB0_52
; %bb.47:                               ;   in Loop: Header=BB0_6 Depth=2
	v_mov_b64_e32 v[6:7], v[22:23]
	v_mov_b64_e32 v[4:5], v[20:21]
	s_mov_b32 s20, exec_lo
	v_cmp_gt_f64_e32 vcc_lo, 0, v[22:23]
	s_delay_alu instid0(VALU_DEP_4)
	v_cmpx_ngt_f64_e32 0, v[2:3]
	s_cbranch_execz .LBB0_51
; %bb.48:                               ;   in Loop: Header=BB0_6 Depth=2
	v_mov_b64_e32 v[4:5], v[22:23]
	v_mov_b64_e32 v[6:7], v[20:21]
	s_mov_b32 s21, exec_lo
	v_cmpx_gt_f64_e32 0, v[0:1]
; %bb.49:                               ;   in Loop: Header=BB0_6 Depth=2
	v_dual_cndmask_b32 v5, v21, v23 :: v_dual_cndmask_b32 v4, v20, v22
	s_delay_alu instid0(VALU_DEP_1)
	v_mov_b64_e32 v[6:7], v[4:5]
; %bb.50:                               ;   in Loop: Header=BB0_6 Depth=2
	s_or_b32 exec_lo, exec_lo, s21
.LBB0_51:                               ;   in Loop: Header=BB0_6 Depth=2
	s_delay_alu instid0(SALU_CYCLE_1) | instskip(SKIP_3) | instid1(VALU_DEP_2)
	s_or_b32 exec_lo, exec_lo, s20
	v_dual_cndmask_b32 v25, v1, v3 :: v_dual_cndmask_b32 v24, v0, v2
	v_dual_cndmask_b32 v33, v3, v1 :: v_dual_cndmask_b32 v32, v2, v0
	s_and_not1_b32 s1, s1, exec_lo
	v_div_scale_f64 v[26:27], null, v[4:5], v[4:5], v[24:25]
	s_delay_alu instid0(VALU_DEP_2) | instskip(SKIP_1) | instid1(VALU_DEP_3)
	v_div_scale_f64 v[34:35], null, v[6:7], v[6:7], v[32:33]
	v_div_scale_f64 v[44:45], vcc_lo, v[24:25], v[4:5], v[24:25]
	v_rcp_f64_e32 v[36:37], v[26:27]
	s_delay_alu instid0(VALU_DEP_2) | instskip(NEXT) | instid1(TRANS32_DEP_2)
	v_rcp_f64_e32 v[38:39], v[34:35]
	v_fma_f64 v[40:41], -v[26:27], v[36:37], 1.0
	s_delay_alu instid0(TRANS32_DEP_1) | instskip(NEXT) | instid1(VALU_DEP_2)
	v_fma_f64 v[42:43], -v[34:35], v[38:39], 1.0
	v_fmac_f64_e32 v[36:37], v[36:37], v[40:41]
	s_delay_alu instid0(VALU_DEP_2) | instskip(NEXT) | instid1(VALU_DEP_2)
	v_fmac_f64_e32 v[38:39], v[38:39], v[42:43]
	v_fma_f64 v[40:41], -v[26:27], v[36:37], 1.0
	s_delay_alu instid0(VALU_DEP_2) | instskip(NEXT) | instid1(VALU_DEP_2)
	v_fma_f64 v[42:43], -v[34:35], v[38:39], 1.0
	v_fmac_f64_e32 v[36:37], v[36:37], v[40:41]
	v_div_scale_f64 v[40:41], s0, v[32:33], v[6:7], v[32:33]
	s_delay_alu instid0(VALU_DEP_3) | instskip(NEXT) | instid1(VALU_DEP_3)
	v_fmac_f64_e32 v[38:39], v[38:39], v[42:43]
	v_mul_f64_e32 v[42:43], v[44:45], v[36:37]
	s_delay_alu instid0(VALU_DEP_2) | instskip(NEXT) | instid1(VALU_DEP_2)
	v_mul_f64_e32 v[46:47], v[40:41], v[38:39]
	v_fma_f64 v[26:27], -v[26:27], v[42:43], v[44:45]
	s_delay_alu instid0(VALU_DEP_2) | instskip(NEXT) | instid1(VALU_DEP_2)
	v_fma_f64 v[34:35], -v[34:35], v[46:47], v[40:41]
	v_div_fmas_f64 v[26:27], v[26:27], v[36:37], v[42:43]
	s_mov_b32 vcc_lo, s0
	s_delay_alu instid0(VALU_DEP_2) | instskip(NEXT) | instid1(VALU_DEP_2)
	v_div_fmas_f64 v[34:35], v[34:35], v[38:39], v[46:47]
	v_div_fixup_f64 v[26:27], v[26:27], v[4:5], v[24:25]
	s_delay_alu instid0(VALU_DEP_2)
	v_div_fixup_f64 v[24:25], v[34:35], v[6:7], v[32:33]
.LBB0_52:                               ;   in Loop: Header=BB0_6 Depth=2
	s_or_b32 exec_lo, exec_lo, s19
	v_mov_b64_e32 v[6:7], 0x7ff8000000000000
	v_mov_b64_e32 v[4:5], 0x7ff8000000000000
	s_and_saveexec_b32 s0, s1
	s_cbranch_execz .LBB0_58
; %bb.53:                               ;   in Loop: Header=BB0_6 Depth=2
	s_mov_b32 s19, exec_lo
                                        ; implicit-def: $vgpr4_vgpr5
	s_delay_alu instid0(VALU_DEP_3)
	v_cmpx_ngt_f64_e32 0, v[2:3]
	s_xor_b32 s19, exec_lo, s19
	s_cbranch_execz .LBB0_55
; %bb.54:                               ;   in Loop: Header=BB0_6 Depth=2
	v_div_scale_f64 v[2:3], null, v[22:23], v[22:23], v[0:1]
	s_delay_alu instid0(VALU_DEP_1) | instskip(SKIP_1) | instid1(TRANS32_DEP_1)
	v_rcp_f64_e32 v[4:5], v[2:3]
	v_nop
	v_fma_f64 v[6:7], -v[2:3], v[4:5], 1.0
	s_delay_alu instid0(VALU_DEP_1) | instskip(NEXT) | instid1(VALU_DEP_1)
	v_fmac_f64_e32 v[4:5], v[4:5], v[6:7]
	v_fma_f64 v[6:7], -v[2:3], v[4:5], 1.0
	s_delay_alu instid0(VALU_DEP_1) | instskip(SKIP_1) | instid1(VALU_DEP_1)
	v_fmac_f64_e32 v[4:5], v[4:5], v[6:7]
	v_div_scale_f64 v[6:7], vcc_lo, v[0:1], v[22:23], v[0:1]
	v_mul_f64_e32 v[20:21], v[6:7], v[4:5]
	s_delay_alu instid0(VALU_DEP_1) | instskip(NEXT) | instid1(VALU_DEP_1)
	v_fma_f64 v[2:3], -v[2:3], v[20:21], v[6:7]
	v_div_fmas_f64 v[2:3], v[2:3], v[4:5], v[20:21]
                                        ; implicit-def: $vgpr20_vgpr21
	s_delay_alu instid0(VALU_DEP_1)
	v_div_fixup_f64 v[4:5], v[2:3], v[22:23], v[0:1]
                                        ; implicit-def: $vgpr2_vgpr3
.LBB0_55:                               ;   in Loop: Header=BB0_6 Depth=2
	s_and_not1_saveexec_b32 s19, s19
	s_cbranch_execz .LBB0_57
; %bb.56:                               ;   in Loop: Header=BB0_6 Depth=2
	v_div_scale_f64 v[0:1], null, v[20:21], v[20:21], v[2:3]
	s_delay_alu instid0(VALU_DEP_1) | instskip(SKIP_1) | instid1(TRANS32_DEP_1)
	v_rcp_f64_e32 v[4:5], v[0:1]
	v_nop
	v_fma_f64 v[6:7], -v[0:1], v[4:5], 1.0
	s_delay_alu instid0(VALU_DEP_1) | instskip(NEXT) | instid1(VALU_DEP_1)
	v_fmac_f64_e32 v[4:5], v[4:5], v[6:7]
	v_fma_f64 v[6:7], -v[0:1], v[4:5], 1.0
	s_delay_alu instid0(VALU_DEP_1) | instskip(SKIP_1) | instid1(VALU_DEP_1)
	v_fmac_f64_e32 v[4:5], v[4:5], v[6:7]
	v_div_scale_f64 v[6:7], vcc_lo, v[2:3], v[20:21], v[2:3]
	v_mul_f64_e32 v[22:23], v[6:7], v[4:5]
	s_delay_alu instid0(VALU_DEP_1) | instskip(NEXT) | instid1(VALU_DEP_1)
	v_fma_f64 v[0:1], -v[0:1], v[22:23], v[6:7]
	v_div_fmas_f64 v[0:1], v[0:1], v[4:5], v[22:23]
	s_delay_alu instid0(VALU_DEP_1)
	v_div_fixup_f64 v[4:5], v[0:1], v[20:21], v[2:3]
.LBB0_57:                               ;   in Loop: Header=BB0_6 Depth=2
	s_or_b32 exec_lo, exec_lo, s19
	v_add_f64_e32 v[0:1], 0xfff00000, v[16:17]
	s_delay_alu instid0(VALU_DEP_2) | instskip(SKIP_2) | instid1(VALU_DEP_2)
	v_add_f64_e64 v[2:3], v[16:17], -v[4:5]
	v_max_num_f64_e32 v[4:5], v[12:13], v[12:13]
	v_max_num_f64_e32 v[6:7], v[14:15], v[14:15]
	;; [unrolled: 1-line block ×3, first 2 shown]
	s_delay_alu instid0(VALU_DEP_2) | instskip(NEXT) | instid1(VALU_DEP_1)
	v_min_num_f64_e32 v[2:3], v[2:3], v[6:7]
	v_cmp_nle_f64_e32 vcc_lo, v[0:1], v[2:3]
	v_cndmask_b32_e64 v5, v1, 0x7ff80000, vcc_lo
	v_cndmask_b32_e64 v4, v0, 0, vcc_lo
	;; [unrolled: 1-line block ×4, first 2 shown]
.LBB0_58:                               ;   in Loop: Header=BB0_6 Depth=2
	s_or_b32 exec_lo, exec_lo, s0
	s_delay_alu instid0(VALU_DEP_3) | instskip(NEXT) | instid1(VALU_DEP_4)
	v_add_f64_e64 v[0:1], v[16:17], -v[24:25]
	v_add_f64_e64 v[2:3], v[16:17], -v[26:27]
	v_max_num_f64_e32 v[20:21], v[12:13], v[12:13]
	v_max_num_f64_e32 v[22:23], v[14:15], v[14:15]
	s_mov_b32 s19, exec_lo
	s_delay_alu instid0(VALU_DEP_2) | instskip(NEXT) | instid1(VALU_DEP_2)
	v_max_num_f64_e32 v[0:1], v[0:1], v[20:21]
	v_min_num_f64_e32 v[2:3], v[2:3], v[22:23]
	s_delay_alu instid0(VALU_DEP_1) | instskip(SKIP_4) | instid1(VALU_DEP_1)
	v_cmp_nle_f64_e32 vcc_lo, v[0:1], v[2:3]
	v_cndmask_b32_e64 v1, v1, 0x7ff80000, vcc_lo
	v_cndmask_b32_e64 v0, v0, 0, vcc_lo
	;; [unrolled: 1-line block ×4, first 2 shown]
	v_add_f64_e32 v[20:21], v[0:1], v[2:3]
	s_delay_alu instid0(VALU_DEP_1)
	v_cmpx_o_f64_e32 v[20:21], v[20:21]
	s_cbranch_execz .LBB0_70
; %bb.59:                               ;   in Loop: Header=BB0_6 Depth=2
	v_mul_f64_e32 v[20:21], 0.5, v[20:21]
	v_add_f64_e64 v[22:23], v[2:3], -v[0:1]
	s_mov_b32 s21, -1
	s_mov_b32 s20, exec_lo
	s_delay_alu instid0(VALU_DEP_2) | instskip(NEXT) | instid1(VALU_DEP_1)
	v_mul_f64_e64 v[20:21], |v[20:21]|, s[2:3]
	v_cmpx_nle_f64_e32 v[22:23], v[20:21]
	s_cbranch_execz .LBB0_67
; %bb.60:                               ;   in Loop: Header=BB0_6 Depth=2
	v_add_f64_e32 v[26:27], -1.0, v[0:1]
	v_add_f64_e32 v[24:25], -1.0, v[2:3]
	s_mov_b32 s0, exec_lo
	s_delay_alu instid0(VALU_DEP_2) | instskip(NEXT) | instid1(VALU_DEP_2)
	v_mul_f64_e32 v[20:21], v[26:27], v[26:27]
	v_mul_f64_e32 v[22:23], v[24:25], v[24:25]
	v_cmpx_le_f64_e32 0, v[26:27]
	s_xor_b32 s0, exec_lo, s0
	s_cbranch_execz .LBB0_62
; %bb.61:                               ;   in Loop: Header=BB0_6 Depth=2
	v_mul_f64_e32 v[22:23], v[26:27], v[26:27]
	v_mul_f64_e32 v[20:21], v[24:25], v[24:25]
                                        ; implicit-def: $vgpr24_vgpr25
.LBB0_62:                               ;   in Loop: Header=BB0_6 Depth=2
	s_and_not1_saveexec_b32 s0, s0
	s_cbranch_execz .LBB0_66
; %bb.63:                               ;   in Loop: Header=BB0_6 Depth=2
	s_mov_b32 s21, exec_lo
	v_cmpx_ge_f64_e32 0, v[24:25]
	s_xor_b32 s21, exec_lo, s21
	s_delay_alu instid0(SALU_CYCLE_1)
	s_and_not1_saveexec_b32 s21, s21
	s_cbranch_execz .LBB0_65
; %bb.64:                               ;   in Loop: Header=BB0_6 Depth=2
	s_delay_alu instid0(VALU_DEP_2)
	v_max_num_f64_e32 v[20:21], v[20:21], v[22:23]
	v_mov_b64_e32 v[22:23], 0
.LBB0_65:                               ;   in Loop: Header=BB0_6 Depth=2
	s_or_b32 exec_lo, exec_lo, s21
.LBB0_66:                               ;   in Loop: Header=BB0_6 Depth=2
	s_delay_alu instid0(SALU_CYCLE_1) | instskip(SKIP_2) | instid1(VALU_DEP_1)
	s_or_b32 exec_lo, exec_lo, s0
	v_mul_f64_e32 v[24:25], v[8:9], v[0:1]
	v_mul_f64_e32 v[26:27], v[8:9], v[2:3]
	v_min_num_f64_e32 v[32:33], v[24:25], v[26:27]
	v_max_num_f64_e32 v[24:25], v[24:25], v[26:27]
	s_delay_alu instid0(VALU_DEP_2) | instskip(NEXT) | instid1(VALU_DEP_2)
	v_add_f64_e32 v[22:23], v[32:33], v[22:23]
	v_add_f64_e32 v[20:21], v[24:25], v[20:21]
	s_delay_alu instid0(VALU_DEP_1) | instskip(SKIP_1) | instid1(VALU_DEP_2)
	v_add_f64_e32 v[24:25], v[22:23], v[20:21]
	v_add_f64_e64 v[20:21], v[20:21], -v[22:23]
	v_cmp_u_f64_e32 vcc_lo, v[24:25], v[24:25]
	s_delay_alu instid0(VALU_DEP_2) | instskip(SKIP_1) | instid1(SALU_CYCLE_1)
	v_cmp_ge_f64_e64 s0, s[2:3], v[20:21]
	s_or_b32 s0, vcc_lo, s0
	s_or_not1_b32 s21, s0, exec_lo
.LBB0_67:                               ;   in Loop: Header=BB0_6 Depth=2
	s_or_b32 exec_lo, exec_lo, s20
	s_and_saveexec_b32 s0, s21
	s_cbranch_execz .LBB0_69
; %bb.68:                               ;   in Loop: Header=BB0_6 Depth=2
	global_store_b128 v28, v[0:3], s[4:5] scale_offset
	s_wait_xcnt 0x0
	v_mov_b64_e32 v[2:3], 0x7ff8000000000000
	v_add_nc_u32_e32 v28, 0x10000, v28
	s_delay_alu instid0(VALU_DEP_2)
	v_mov_b64_e32 v[0:1], v[2:3]
.LBB0_69:                               ;   in Loop: Header=BB0_6 Depth=2
	s_or_b32 exec_lo, exec_lo, s0
.LBB0_70:                               ;   in Loop: Header=BB0_6 Depth=2
	s_delay_alu instid0(SALU_CYCLE_1)
	s_or_b32 exec_lo, exec_lo, s19
	s_and_saveexec_b32 s19, s1
	s_cbranch_execz .LBB0_84
; %bb.71:                               ;   in Loop: Header=BB0_6 Depth=2
	v_add_f64_e32 v[20:21], v[4:5], v[6:7]
	s_mov_b32 s20, exec_lo
	s_delay_alu instid0(VALU_DEP_1)
	v_cmpx_o_f64_e32 v[20:21], v[20:21]
	s_cbranch_execz .LBB0_83
; %bb.72:                               ;   in Loop: Header=BB0_6 Depth=2
	v_mul_f64_e32 v[20:21], 0.5, v[20:21]
	v_add_f64_e64 v[22:23], v[6:7], -v[4:5]
	s_mov_b32 s22, -1
	s_mov_b32 s21, exec_lo
	s_delay_alu instid0(VALU_DEP_2) | instskip(NEXT) | instid1(VALU_DEP_1)
	v_mul_f64_e64 v[20:21], |v[20:21]|, s[2:3]
	v_cmpx_nle_f64_e32 v[22:23], v[20:21]
	s_cbranch_execz .LBB0_80
; %bb.73:                               ;   in Loop: Header=BB0_6 Depth=2
	v_add_f64_e32 v[26:27], -1.0, v[4:5]
	v_add_f64_e32 v[24:25], -1.0, v[6:7]
	s_mov_b32 s0, exec_lo
	s_delay_alu instid0(VALU_DEP_2) | instskip(NEXT) | instid1(VALU_DEP_2)
	v_mul_f64_e32 v[20:21], v[26:27], v[26:27]
	v_mul_f64_e32 v[22:23], v[24:25], v[24:25]
	v_cmpx_le_f64_e32 0, v[26:27]
	s_xor_b32 s0, exec_lo, s0
	s_cbranch_execz .LBB0_75
; %bb.74:                               ;   in Loop: Header=BB0_6 Depth=2
	v_mul_f64_e32 v[22:23], v[26:27], v[26:27]
	v_mul_f64_e32 v[20:21], v[24:25], v[24:25]
                                        ; implicit-def: $vgpr24_vgpr25
.LBB0_75:                               ;   in Loop: Header=BB0_6 Depth=2
	s_and_not1_saveexec_b32 s0, s0
	s_cbranch_execz .LBB0_79
; %bb.76:                               ;   in Loop: Header=BB0_6 Depth=2
	s_mov_b32 s22, exec_lo
	v_cmpx_ge_f64_e32 0, v[24:25]
	s_xor_b32 s22, exec_lo, s22
	s_delay_alu instid0(SALU_CYCLE_1)
	s_and_not1_saveexec_b32 s22, s22
	s_cbranch_execz .LBB0_78
; %bb.77:                               ;   in Loop: Header=BB0_6 Depth=2
	s_delay_alu instid0(VALU_DEP_2)
	v_max_num_f64_e32 v[20:21], v[20:21], v[22:23]
	v_mov_b64_e32 v[22:23], 0
.LBB0_78:                               ;   in Loop: Header=BB0_6 Depth=2
	s_or_b32 exec_lo, exec_lo, s22
.LBB0_79:                               ;   in Loop: Header=BB0_6 Depth=2
	s_delay_alu instid0(SALU_CYCLE_1) | instskip(SKIP_2) | instid1(VALU_DEP_1)
	s_or_b32 exec_lo, exec_lo, s0
	v_mul_f64_e32 v[24:25], v[8:9], v[4:5]
	v_mul_f64_e32 v[26:27], v[8:9], v[6:7]
	v_min_num_f64_e32 v[32:33], v[24:25], v[26:27]
	v_max_num_f64_e32 v[24:25], v[24:25], v[26:27]
	s_delay_alu instid0(VALU_DEP_2) | instskip(NEXT) | instid1(VALU_DEP_2)
	v_add_f64_e32 v[22:23], v[32:33], v[22:23]
	v_add_f64_e32 v[20:21], v[24:25], v[20:21]
	s_delay_alu instid0(VALU_DEP_1) | instskip(SKIP_1) | instid1(VALU_DEP_2)
	v_add_f64_e32 v[24:25], v[22:23], v[20:21]
	v_add_f64_e64 v[20:21], v[20:21], -v[22:23]
	v_cmp_u_f64_e32 vcc_lo, v[24:25], v[24:25]
	s_delay_alu instid0(VALU_DEP_2) | instskip(SKIP_1) | instid1(SALU_CYCLE_1)
	v_cmp_ge_f64_e64 s0, s[2:3], v[20:21]
	s_or_b32 s0, vcc_lo, s0
	s_or_not1_b32 s22, s0, exec_lo
.LBB0_80:                               ;   in Loop: Header=BB0_6 Depth=2
	s_or_b32 exec_lo, exec_lo, s21
	s_and_saveexec_b32 s0, s22
	s_cbranch_execz .LBB0_82
; %bb.81:                               ;   in Loop: Header=BB0_6 Depth=2
	global_store_b128 v28, v[4:7], s[4:5] scale_offset
	s_wait_xcnt 0x0
	v_mov_b64_e32 v[6:7], 0x7ff8000000000000
	v_add_nc_u32_e32 v28, 0x10000, v28
	s_delay_alu instid0(VALU_DEP_2)
	v_mov_b64_e32 v[4:5], v[6:7]
.LBB0_82:                               ;   in Loop: Header=BB0_6 Depth=2
	s_or_b32 exec_lo, exec_lo, s0
.LBB0_83:                               ;   in Loop: Header=BB0_6 Depth=2
	s_delay_alu instid0(SALU_CYCLE_1)
	s_or_b32 exec_lo, exec_lo, s20
.LBB0_84:                               ;   in Loop: Header=BB0_6 Depth=2
	s_delay_alu instid0(SALU_CYCLE_1) | instskip(SKIP_3) | instid1(VALU_DEP_3)
	s_or_b32 exec_lo, exec_lo, s19
	v_add_f64_e64 v[20:21], v[14:15], -v[12:13]
	v_cmp_o_f64_e32 vcc_lo, v[18:19], v[18:19]
	v_add_f64_e64 v[24:25], v[2:3], -v[0:1]
	v_mul_f64_e32 v[20:21], 0x3fefae1480000000, v[20:21]
	s_delay_alu instid0(VALU_DEP_1) | instskip(NEXT) | instid1(VALU_DEP_2)
	v_dual_add_f64 v[18:19], v[0:1], v[2:3] :: v_dual_cndmask_b32 v23, 0, v21, vcc_lo
	v_cndmask_b32_e32 v22, 0, v20, vcc_lo
	s_delay_alu instid0(VALU_DEP_2) | instskip(NEXT) | instid1(VALU_DEP_2)
	v_cmp_o_f64_e32 vcc_lo, v[18:19], v[18:19]
                                        ; implicit-def: $vgpr20_vgpr21
	v_cmp_gt_f64_e64 s0, v[24:25], v[22:23]
	s_and_b32 s19, vcc_lo, s0
	s_delay_alu instid0(SALU_CYCLE_1) | instskip(NEXT) | instid1(SALU_CYCLE_1)
	s_xor_b32 s0, s19, -1
	s_and_saveexec_b32 s20, s0
	s_cbranch_execz .LBB0_86
; %bb.85:                               ;   in Loop: Header=BB0_6 Depth=2
	v_add_f64_e32 v[20:21], v[4:5], v[6:7]
	v_add_f64_e64 v[24:25], v[6:7], -v[4:5]
	s_and_not1_b32 s19, s19, exec_lo
	s_delay_alu instid0(VALU_DEP_2) | instskip(NEXT) | instid1(VALU_DEP_2)
	v_cmp_o_f64_e32 vcc_lo, v[20:21], v[20:21]
	v_cmp_gt_f64_e64 s0, v[24:25], v[22:23]
	s_and_b32 s0, vcc_lo, s0
	s_delay_alu instid0(SALU_CYCLE_1) | instskip(NEXT) | instid1(SALU_CYCLE_1)
	s_and_b32 s0, s0, exec_lo
	s_or_b32 s19, s19, s0
.LBB0_86:                               ;   in Loop: Header=BB0_6 Depth=2
	s_or_b32 exec_lo, exec_lo, s20
	s_and_saveexec_b32 s0, s19
	s_cbranch_execz .LBB0_88
; %bb.87:                               ;   in Loop: Header=BB0_6 Depth=2
	v_add_f64_e32 v[18:19], v[12:13], v[16:17]
	v_add_f64_e32 v[20:21], v[16:17], v[14:15]
	v_mov_b64_e32 v[4:5], v[16:17]
	v_mov_b64_e32 v[6:7], v[14:15]
	v_mov_b64_e32 v[0:1], v[12:13]
	v_mov_b64_e32 v[2:3], v[16:17]
	s_or_b32 s1, s1, exec_lo
.LBB0_88:                               ;   in Loop: Header=BB0_6 Depth=2
	s_or_b32 exec_lo, exec_lo, s0
	v_cmp_o_f64_e32 vcc_lo, v[20:21], v[20:21]
	v_cmp_o_f64_e64 s0, v[18:19], v[18:19]
	s_and_b32 s19, vcc_lo, s1
	s_mov_b32 s1, -1
	s_and_saveexec_b32 s20, s0
	s_delay_alu instid0(SALU_CYCLE_1)
	s_xor_b32 s0, exec_lo, s20
; %bb.89:                               ;   in Loop: Header=BB0_6 Depth=2
	s_or_not1_b32 s1, s19, exec_lo
; %bb.90:                               ;   in Loop: Header=BB0_6 Depth=2
	s_or_saveexec_b32 s0, s0
	v_mov_b64_e32 v[14:15], v[2:3]
	v_mov_b64_e32 v[12:13], v[0:1]
	s_or_b32 s18, s18, exec_lo
	s_xor_b32 exec_lo, exec_lo, s0
	s_cbranch_execz .LBB0_5
; %bb.91:                               ;   in Loop: Header=BB0_6 Depth=2
	v_mov_b64_e32 v[14:15], v[6:7]
	v_mov_b64_e32 v[12:13], v[4:5]
	s_xor_b32 s19, s19, -1
	s_and_not1_b32 s1, s1, exec_lo
	s_and_b32 s19, s19, exec_lo
	s_and_not1_b32 s18, s18, exec_lo
	s_or_b32 s1, s1, s19
	s_branch .LBB0_5
.LBB0_92:                               ;   in Loop: Header=BB0_4 Depth=1
	s_or_b32 exec_lo, exec_lo, s17
	s_mov_b32 s0, -1
                                        ; implicit-def: $vgpr12
	s_and_saveexec_b32 s1, s16
	s_delay_alu instid0(SALU_CYCLE_1)
	s_xor_b32 s1, exec_lo, s1
	s_cbranch_execz .LBB0_94
; %bb.93:                               ;   in Loop: Header=BB0_4 Depth=1
	v_add_nc_u32_e32 v12, 1, v29
	s_xor_b32 s0, exec_lo, -1
	scratch_store_b128 v29, v[4:7], off offset:16 scale_offset
.LBB0_94:                               ;   in Loop: Header=BB0_4 Depth=1
	s_wait_xcnt 0x0
	s_or_b32 exec_lo, exec_lo, s1
	s_delay_alu instid0(SALU_CYCLE_1) | instskip(NEXT) | instid1(SALU_CYCLE_1)
	s_and_b32 s0, exec_lo, s0
	s_or_b32 s15, s0, s15
	s_delay_alu instid0(SALU_CYCLE_1)
	s_and_not1_b32 exec_lo, exec_lo, s15
	s_cbranch_execnz .LBB0_4
; %bb.95:                               ;   in Loop: Header=BB0_4 Depth=1
	s_or_b32 exec_lo, exec_lo, s15
	s_mov_b32 s1, -1
	s_mov_b32 s0, exec_lo
                                        ; implicit-def: $vgpr2_vgpr3
                                        ; implicit-def: $vgpr12
	v_cmpx_ne_u32_e32 -1, v29
	s_cbranch_execz .LBB0_3
; %bb.96:                               ;   in Loop: Header=BB0_4 Depth=1
	scratch_load_b128 v[0:3], v29, off scale_offset
	v_add_nc_u32_e32 v12, -1, v29
	s_xor_b32 s1, exec_lo, -1
	s_branch .LBB0_3
.LBB0_97:
	s_mov_b32 s0, 0
                                        ; implicit-def: $vgpr28
	s_cbranch_execnz .LBB0_100
	s_branch .LBB0_101
.LBB0_98:
	s_mov_b32 s0, -1
                                        ; implicit-def: $vgpr28
	s_branch .LBB0_101
.LBB0_99:
	s_or_b32 exec_lo, exec_lo, s14
	s_mov_b32 s0, 0
	s_branch .LBB0_101
.LBB0_100:
	s_cmp_lg_u32 s13, 0
	s_mov_b32 s12, -1
	s_cselect_b32 s0, -1, 0
.LBB0_101:
	v_cvt_f64_i32_e32 v[14:15], v30
	s_and_not1_b32 vcc_lo, exec_lo, s0
	s_delay_alu instid0(VALU_DEP_1)
	v_ldexp_f64 v[12:13], -v[14:15], -16
	s_cbranch_vccz .LBB0_103
; %bb.102:
	s_and_b32 vcc_lo, exec_lo, s12
	s_cbranch_vccnz .LBB0_182
	s_branch .LBB0_261
.LBB0_103:
	v_mov_b64_e32 v[4:5], -2.0
	s_wait_loadcnt 0x0
	v_dual_mov_b32 v0, s8 :: v_dual_mov_b32 v1, s9
	v_dual_mov_b32 v2, s10 :: v_dual_mov_b32 v3, s11
	;; [unrolled: 1-line block ×3, first 2 shown]
	s_delay_alu instid0(VALU_DEP_4)
	v_fmamk_f64 v[16:17], v[14:15], 0xbef00000, v[4:5]
	v_mov_b32_e32 v32, v30
	s_mov_b64 s[12:13], 0x3eb0c6f7a0000000
	s_mov_b32 s3, 0
	scratch_store_b128 off, v[0:3], off
	s_branch .LBB0_106
.LBB0_104:                              ;   in Loop: Header=BB0_106 Depth=1
	s_or_b32 exec_lo, exec_lo, s0
	v_dual_mov_b32 v6, v32 :: v_dual_mov_b32 v28, v31
.LBB0_105:                              ;   in Loop: Header=BB0_106 Depth=1
	s_or_b32 exec_lo, exec_lo, s14
	s_delay_alu instid0(VALU_DEP_1) | instskip(NEXT) | instid1(VALU_DEP_2)
	v_cmp_eq_u32_e32 vcc_lo, -1, v34
	v_dual_mov_b32 v31, v28 :: v_dual_mov_b32 v32, v6
	v_mov_b32_e32 v33, v34
	s_or_b32 s3, vcc_lo, s3
	s_delay_alu instid0(SALU_CYCLE_1)
	s_and_not1_b32 exec_lo, exec_lo, s3
	s_cbranch_execz .LBB0_181
.LBB0_106:                              ; =>This Inner Loop Header: Depth=1
	scratch_load_b128 v[0:3], v33, off scale_offset
	s_mov_b32 s1, 0
	s_mov_b32 s2, exec_lo
                                        ; implicit-def: $vgpr6
                                        ; implicit-def: $vgpr28
	s_wait_loadcnt 0x0
	v_add_f64_e32 v[4:5], v[0:1], v[2:3]
	v_add_f64_e64 v[8:9], v[2:3], -v[0:1]
	s_delay_alu instid0(VALU_DEP_2)
	v_cmp_u_f64_e64 s0, v[4:5], v[4:5]
	v_mul_f64_e32 v[18:19], 0.5, v[4:5]
	s_wait_xcnt 0x0
	v_cmpx_o_f64_e32 v[4:5], v[4:5]
	s_xor_b32 s2, exec_lo, s2
	s_cbranch_execnz .LBB0_109
; %bb.107:                              ;   in Loop: Header=BB0_106 Depth=1
	s_and_not1_saveexec_b32 s2, s2
	s_cbranch_execnz .LBB0_120
.LBB0_108:                              ;   in Loop: Header=BB0_106 Depth=1
	s_or_b32 exec_lo, exec_lo, s2
	v_add_nc_u32_e32 v34, -1, v33
	s_and_saveexec_b32 s14, s1
	s_cbranch_execz .LBB0_105
	s_branch .LBB0_121
.LBB0_109:                              ;   in Loop: Header=BB0_106 Depth=1
	v_mul_f64_e32 v[18:19], 0.5, v[4:5]
	s_mov_b32 s1, -1
	s_mov_b32 s15, 0
	s_mov_b32 s14, exec_lo
	s_delay_alu instid0(VALU_DEP_1) | instskip(NEXT) | instid1(VALU_DEP_1)
	v_mul_f64_e64 v[4:5], |v[18:19]|, s[12:13]
	v_cmpx_nle_f64_e32 v[8:9], v[4:5]
	s_cbranch_execz .LBB0_117
; %bb.110:                              ;   in Loop: Header=BB0_106 Depth=1
	v_add_f64_e32 v[20:21], -1.0, v[0:1]
	v_add_f64_e32 v[10:11], -1.0, v[2:3]
	s_mov_b32 s1, exec_lo
	s_delay_alu instid0(VALU_DEP_2) | instskip(NEXT) | instid1(VALU_DEP_2)
	v_mul_f64_e32 v[4:5], v[20:21], v[20:21]
	v_mul_f64_e32 v[6:7], v[10:11], v[10:11]
	v_cmpx_le_f64_e32 0, v[20:21]
	s_xor_b32 s1, exec_lo, s1
	s_cbranch_execz .LBB0_112
; %bb.111:                              ;   in Loop: Header=BB0_106 Depth=1
	v_mul_f64_e32 v[6:7], v[20:21], v[20:21]
	v_mul_f64_e32 v[4:5], v[10:11], v[10:11]
                                        ; implicit-def: $vgpr10_vgpr11
.LBB0_112:                              ;   in Loop: Header=BB0_106 Depth=1
	s_and_not1_saveexec_b32 s1, s1
	s_cbranch_execz .LBB0_116
; %bb.113:                              ;   in Loop: Header=BB0_106 Depth=1
	s_mov_b32 s15, exec_lo
	v_cmpx_ge_f64_e32 0, v[10:11]
	s_xor_b32 s15, exec_lo, s15
	s_delay_alu instid0(SALU_CYCLE_1)
	s_and_not1_saveexec_b32 s15, s15
	s_cbranch_execz .LBB0_115
; %bb.114:                              ;   in Loop: Header=BB0_106 Depth=1
	s_delay_alu instid0(VALU_DEP_2)
	v_max_num_f64_e32 v[4:5], v[4:5], v[6:7]
	v_mov_b64_e32 v[6:7], 0
.LBB0_115:                              ;   in Loop: Header=BB0_106 Depth=1
	s_or_b32 exec_lo, exec_lo, s15
.LBB0_116:                              ;   in Loop: Header=BB0_106 Depth=1
	s_delay_alu instid0(SALU_CYCLE_1) | instskip(SKIP_3) | instid1(VALU_DEP_1)
	s_or_b32 exec_lo, exec_lo, s1
	v_mul_f64_e32 v[10:11], v[12:13], v[0:1]
	v_mul_f64_e32 v[20:21], v[12:13], v[2:3]
	s_mov_b32 s15, exec_lo
	v_min_num_f64_e32 v[22:23], v[10:11], v[20:21]
	v_max_num_f64_e32 v[10:11], v[10:11], v[20:21]
	s_delay_alu instid0(VALU_DEP_2) | instskip(NEXT) | instid1(VALU_DEP_2)
	v_add_f64_e32 v[6:7], v[22:23], v[6:7]
	v_add_f64_e32 v[4:5], v[10:11], v[4:5]
	s_delay_alu instid0(VALU_DEP_1) | instskip(SKIP_1) | instid1(VALU_DEP_2)
	v_add_f64_e32 v[10:11], v[6:7], v[4:5]
	v_add_f64_e64 v[4:5], v[4:5], -v[6:7]
	v_cmp_u_f64_e32 vcc_lo, v[10:11], v[10:11]
	s_delay_alu instid0(VALU_DEP_2) | instskip(SKIP_1) | instid1(SALU_CYCLE_1)
	v_cmp_ge_f64_e64 s1, s[12:13], v[4:5]
	s_or_b32 s1, vcc_lo, s1
	s_or_not1_b32 s1, s1, exec_lo
.LBB0_117:                              ;   in Loop: Header=BB0_106 Depth=1
	s_or_b32 exec_lo, exec_lo, s14
                                        ; implicit-def: $vgpr6
                                        ; implicit-def: $vgpr28
	s_and_saveexec_b32 s14, s1
	s_delay_alu instid0(SALU_CYCLE_1)
	s_xor_b32 s1, exec_lo, s14
	s_cbranch_execz .LBB0_119
; %bb.118:                              ;   in Loop: Header=BB0_106 Depth=1
	v_add_nc_u32_e32 v6, 0x10000, v32
	s_and_not1_b32 s15, s15, exec_lo
	global_store_b128 v32, v[0:3], s[4:5] scale_offset
	v_mov_b32_e32 v28, v6
.LBB0_119:                              ;   in Loop: Header=BB0_106 Depth=1
	s_wait_xcnt 0x0
	s_or_b32 exec_lo, exec_lo, s1
	s_delay_alu instid0(SALU_CYCLE_1)
	s_and_b32 s1, s15, exec_lo
	s_and_not1_saveexec_b32 s2, s2
	s_cbranch_execz .LBB0_108
.LBB0_120:                              ;   in Loop: Header=BB0_106 Depth=1
	s_or_b32 s1, s1, exec_lo
	s_or_b32 exec_lo, exec_lo, s2
	v_add_nc_u32_e32 v34, -1, v33
	s_and_saveexec_b32 s14, s1
	s_cbranch_execz .LBB0_105
.LBB0_121:                              ;   in Loop: Header=BB0_106 Depth=1
	s_delay_alu instid0(VALU_DEP_3) | instskip(SKIP_1) | instid1(VALU_DEP_1)
	v_add_f64_e32 v[6:7], -1.0, v[18:19]
	s_mov_b32 s1, exec_lo
                                        ; implicit-def: $vgpr10_vgpr11
	v_mul_f64_e32 v[4:5], v[6:7], v[6:7]
	v_cmpx_le_f64_e32 0, v[6:7]
	s_xor_b32 s1, exec_lo, s1
; %bb.122:                              ;   in Loop: Header=BB0_106 Depth=1
	v_mul_f64_e32 v[10:11], v[6:7], v[6:7]
                                        ; implicit-def: $vgpr6_vgpr7
                                        ; implicit-def: $vgpr4_vgpr5
; %bb.123:                              ;   in Loop: Header=BB0_106 Depth=1
	s_or_saveexec_b32 s1, s1
	s_delay_alu instid0(VALU_DEP_1)
	v_mov_b64_e32 v[20:21], v[10:11]
	s_xor_b32 exec_lo, exec_lo, s1
	s_cbranch_execz .LBB0_125
; %bb.124:                              ;   in Loop: Header=BB0_106 Depth=1
	v_cmp_ge_f64_e32 vcc_lo, 0, v[6:7]
	v_mov_b64_e32 v[20:21], v[4:5]
	v_dual_cndmask_b32 v11, 0, v5 :: v_dual_cndmask_b32 v10, 0, v4
.LBB0_125:                              ;   in Loop: Header=BB0_106 Depth=1
	s_or_b32 exec_lo, exec_lo, s1
	v_add_f64_e32 v[4:5], v[0:1], v[0:1]
	v_add_f64_e32 v[6:7], v[2:3], v[2:3]
	s_delay_alu instid0(VALU_DEP_3) | instskip(NEXT) | instid1(VALU_DEP_4)
	v_fmac_f64_e32 v[10:11], v[12:13], v[18:19]
	v_fmac_f64_e32 v[20:21], v[12:13], v[18:19]
                                        ; implicit-def: $sgpr2
                                        ; implicit-def: $vgpr28_vgpr29
                                        ; implicit-def: $vgpr26_vgpr27
	s_delay_alu instid0(VALU_DEP_3) | instskip(SKIP_1) | instid1(VALU_DEP_2)
	v_min_num_f64_e32 v[22:23], v[4:5], v[6:7]
	v_max_num_f64_e32 v[4:5], v[4:5], v[6:7]
	v_add_f64_e32 v[22:23], v[16:17], v[22:23]
	s_delay_alu instid0(VALU_DEP_2) | instskip(NEXT) | instid1(VALU_DEP_2)
	v_add_f64_e32 v[24:25], v[16:17], v[4:5]
	v_cmp_ge_f64_e32 vcc_lo, 0, v[22:23]
	s_delay_alu instid0(VALU_DEP_2) | instskip(SKIP_1) | instid1(SALU_CYCLE_1)
	v_cmp_le_f64_e64 s1, 0, v[24:25]
	s_and_b32 s1, vcc_lo, s1
	s_and_saveexec_b32 s15, s1
	s_delay_alu instid0(SALU_CYCLE_1)
	s_xor_b32 s15, exec_lo, s15
	s_cbranch_execz .LBB0_161
; %bb.126:                              ;   in Loop: Header=BB0_106 Depth=1
	v_cmp_eq_f64_e64 s1, 0, v[24:25]
	s_mov_b32 s16, exec_lo
	v_cmp_neq_f64_e32 vcc_lo, 0, v[24:25]
                                        ; implicit-def: $vgpr28_vgpr29
                                        ; implicit-def: $vgpr26_vgpr27
	v_cmpx_eq_f64_e32 0, v[22:23]
	s_xor_b32 s16, exec_lo, s16
	s_cbranch_execz .LBB0_138
; %bb.127:                              ;   in Loop: Header=BB0_106 Depth=1
	v_mov_b64_e32 v[28:29], 0x7ff8000000000000
	v_mov_b64_e32 v[26:27], 0x7ff8000000000000
	s_and_saveexec_b32 s17, vcc_lo
	s_cbranch_execz .LBB0_137
; %bb.128:                              ;   in Loop: Header=BB0_106 Depth=1
	v_cmp_neq_f64_e32 vcc_lo, 0, v[10:11]
	v_cmp_neq_f64_e64 s2, 0, v[20:21]
	v_mov_b64_e32 v[28:29], v[10:11]
	v_mov_b64_e32 v[26:27], v[20:21]
	s_or_b32 s18, vcc_lo, s2
	s_delay_alu instid0(SALU_CYCLE_1)
	s_and_saveexec_b32 s2, s18
	s_cbranch_execz .LBB0_136
; %bb.129:                              ;   in Loop: Header=BB0_106 Depth=1
	s_mov_b32 s18, exec_lo
                                        ; implicit-def: $vgpr28_vgpr29
	v_cmpx_ngt_f64_e32 0, v[20:21]
	s_xor_b32 s18, exec_lo, s18
	s_cbranch_execz .LBB0_133
; %bb.130:                              ;   in Loop: Header=BB0_106 Depth=1
	v_mov_b64_e32 v[28:29], 0xfff0000000000000
	s_mov_b32 s19, exec_lo
	v_cmpx_ngt_f64_e32 0, v[10:11]
	s_cbranch_execz .LBB0_132
; %bb.131:                              ;   in Loop: Header=BB0_106 Depth=1
	v_div_scale_f64 v[4:5], null, v[24:25], v[24:25], v[10:11]
	s_delay_alu instid0(VALU_DEP_1) | instskip(SKIP_1) | instid1(TRANS32_DEP_1)
	v_rcp_f64_e32 v[6:7], v[4:5]
	v_nop
	v_fma_f64 v[26:27], -v[4:5], v[6:7], 1.0
	s_delay_alu instid0(VALU_DEP_1) | instskip(NEXT) | instid1(VALU_DEP_1)
	v_fmac_f64_e32 v[6:7], v[6:7], v[26:27]
	v_fma_f64 v[26:27], -v[4:5], v[6:7], 1.0
	s_delay_alu instid0(VALU_DEP_1) | instskip(SKIP_1) | instid1(VALU_DEP_1)
	v_fmac_f64_e32 v[6:7], v[6:7], v[26:27]
	v_div_scale_f64 v[26:27], vcc_lo, v[10:11], v[24:25], v[10:11]
	v_mul_f64_e32 v[28:29], v[26:27], v[6:7]
	s_delay_alu instid0(VALU_DEP_1) | instskip(NEXT) | instid1(VALU_DEP_1)
	v_fma_f64 v[4:5], -v[4:5], v[28:29], v[26:27]
	v_div_fmas_f64 v[4:5], v[4:5], v[6:7], v[28:29]
	s_delay_alu instid0(VALU_DEP_1)
	v_div_fixup_f64 v[28:29], v[4:5], v[24:25], v[10:11]
.LBB0_132:                              ;   in Loop: Header=BB0_106 Depth=1
	s_or_b32 exec_lo, exec_lo, s19
.LBB0_133:                              ;   in Loop: Header=BB0_106 Depth=1
	s_or_saveexec_b32 s18, s18
	v_mov_b64_e32 v[26:27], 0x7ff0000000000000
	s_xor_b32 exec_lo, exec_lo, s18
	s_cbranch_execz .LBB0_135
; %bb.134:                              ;   in Loop: Header=BB0_106 Depth=1
	v_div_scale_f64 v[4:5], null, v[24:25], v[24:25], v[20:21]
	s_delay_alu instid0(VALU_DEP_1) | instskip(SKIP_1) | instid1(TRANS32_DEP_1)
	v_rcp_f64_e32 v[6:7], v[4:5]
	v_nop
	v_fma_f64 v[26:27], -v[4:5], v[6:7], 1.0
	s_delay_alu instid0(VALU_DEP_1) | instskip(NEXT) | instid1(VALU_DEP_1)
	v_fmac_f64_e32 v[6:7], v[6:7], v[26:27]
	v_fma_f64 v[26:27], -v[4:5], v[6:7], 1.0
	s_delay_alu instid0(VALU_DEP_1) | instskip(SKIP_1) | instid1(VALU_DEP_1)
	v_fmac_f64_e32 v[6:7], v[6:7], v[26:27]
	v_div_scale_f64 v[26:27], vcc_lo, v[20:21], v[24:25], v[20:21]
	v_mul_f64_e32 v[28:29], v[26:27], v[6:7]
	s_delay_alu instid0(VALU_DEP_1) | instskip(NEXT) | instid1(VALU_DEP_1)
	v_fma_f64 v[4:5], -v[4:5], v[28:29], v[26:27]
	v_div_fmas_f64 v[4:5], v[4:5], v[6:7], v[28:29]
	v_mov_b64_e32 v[28:29], 0xfff0000000000000
	s_delay_alu instid0(VALU_DEP_2)
	v_div_fixup_f64 v[26:27], v[4:5], v[24:25], v[20:21]
.LBB0_135:                              ;   in Loop: Header=BB0_106 Depth=1
	s_or_b32 exec_lo, exec_lo, s18
.LBB0_136:                              ;   in Loop: Header=BB0_106 Depth=1
	s_delay_alu instid0(SALU_CYCLE_1)
	s_or_b32 exec_lo, exec_lo, s2
.LBB0_137:                              ;   in Loop: Header=BB0_106 Depth=1
	s_delay_alu instid0(SALU_CYCLE_1)
	s_or_b32 exec_lo, exec_lo, s17
.LBB0_138:                              ;   in Loop: Header=BB0_106 Depth=1
	s_or_saveexec_b32 s16, s16
	s_mov_b32 s2, 0
	s_xor_b32 exec_lo, exec_lo, s16
	s_cbranch_execz .LBB0_160
; %bb.139:                              ;   in Loop: Header=BB0_106 Depth=1
	v_cmp_neq_f64_e32 vcc_lo, 0, v[10:11]
	v_cmp_neq_f64_e64 s2, 0, v[20:21]
                                        ; implicit-def: $vgpr28_vgpr29
                                        ; implicit-def: $vgpr26_vgpr27
	s_or_b32 s2, vcc_lo, s2
	s_and_saveexec_b32 s17, s1
	s_delay_alu instid0(SALU_CYCLE_1)
	s_xor_b32 s1, exec_lo, s17
	s_cbranch_execz .LBB0_149
; %bb.140:                              ;   in Loop: Header=BB0_106 Depth=1
	v_mov_b64_e32 v[28:29], v[10:11]
	v_mov_b64_e32 v[26:27], v[20:21]
	s_and_saveexec_b32 s17, s2
	s_cbranch_execz .LBB0_148
; %bb.141:                              ;   in Loop: Header=BB0_106 Depth=1
	s_mov_b32 s18, exec_lo
                                        ; implicit-def: $vgpr26_vgpr27
	v_cmpx_ngt_f64_e32 0, v[20:21]
	s_xor_b32 s18, exec_lo, s18
	s_cbranch_execz .LBB0_145
; %bb.142:                              ;   in Loop: Header=BB0_106 Depth=1
	v_mov_b64_e32 v[26:27], 0x7ff0000000000000
	s_mov_b32 s19, exec_lo
	v_cmpx_ngt_f64_e32 0, v[10:11]
	s_cbranch_execz .LBB0_144
; %bb.143:                              ;   in Loop: Header=BB0_106 Depth=1
	v_div_scale_f64 v[4:5], null, v[22:23], v[22:23], v[10:11]
	s_delay_alu instid0(VALU_DEP_1) | instskip(SKIP_1) | instid1(TRANS32_DEP_1)
	v_rcp_f64_e32 v[6:7], v[4:5]
	v_nop
	v_fma_f64 v[26:27], -v[4:5], v[6:7], 1.0
	s_delay_alu instid0(VALU_DEP_1) | instskip(NEXT) | instid1(VALU_DEP_1)
	v_fmac_f64_e32 v[6:7], v[6:7], v[26:27]
	v_fma_f64 v[26:27], -v[4:5], v[6:7], 1.0
	s_delay_alu instid0(VALU_DEP_1) | instskip(SKIP_1) | instid1(VALU_DEP_1)
	v_fmac_f64_e32 v[6:7], v[6:7], v[26:27]
	v_div_scale_f64 v[26:27], vcc_lo, v[10:11], v[22:23], v[10:11]
	v_mul_f64_e32 v[28:29], v[26:27], v[6:7]
	s_delay_alu instid0(VALU_DEP_1) | instskip(NEXT) | instid1(VALU_DEP_1)
	v_fma_f64 v[4:5], -v[4:5], v[28:29], v[26:27]
	v_div_fmas_f64 v[4:5], v[4:5], v[6:7], v[28:29]
	s_delay_alu instid0(VALU_DEP_1)
	v_div_fixup_f64 v[26:27], v[4:5], v[22:23], v[10:11]
.LBB0_144:                              ;   in Loop: Header=BB0_106 Depth=1
	s_or_b32 exec_lo, exec_lo, s19
.LBB0_145:                              ;   in Loop: Header=BB0_106 Depth=1
	s_or_saveexec_b32 s18, s18
	v_mov_b64_e32 v[28:29], 0xfff0000000000000
	s_xor_b32 exec_lo, exec_lo, s18
	s_cbranch_execz .LBB0_147
; %bb.146:                              ;   in Loop: Header=BB0_106 Depth=1
	v_div_scale_f64 v[4:5], null, v[22:23], v[22:23], v[20:21]
	s_delay_alu instid0(VALU_DEP_1) | instskip(SKIP_1) | instid1(TRANS32_DEP_1)
	v_rcp_f64_e32 v[6:7], v[4:5]
	v_nop
	v_fma_f64 v[26:27], -v[4:5], v[6:7], 1.0
	s_delay_alu instid0(VALU_DEP_1) | instskip(NEXT) | instid1(VALU_DEP_1)
	v_fmac_f64_e32 v[6:7], v[6:7], v[26:27]
	v_fma_f64 v[26:27], -v[4:5], v[6:7], 1.0
	s_delay_alu instid0(VALU_DEP_1) | instskip(SKIP_1) | instid1(VALU_DEP_1)
	v_fmac_f64_e32 v[6:7], v[6:7], v[26:27]
	v_div_scale_f64 v[26:27], vcc_lo, v[20:21], v[22:23], v[20:21]
	v_mul_f64_e32 v[28:29], v[26:27], v[6:7]
	s_delay_alu instid0(VALU_DEP_1) | instskip(SKIP_1) | instid1(VALU_DEP_2)
	v_fma_f64 v[4:5], -v[4:5], v[28:29], v[26:27]
	v_mov_b64_e32 v[26:27], 0x7ff0000000000000
	v_div_fmas_f64 v[4:5], v[4:5], v[6:7], v[28:29]
	s_delay_alu instid0(VALU_DEP_1)
	v_div_fixup_f64 v[28:29], v[4:5], v[22:23], v[20:21]
.LBB0_147:                              ;   in Loop: Header=BB0_106 Depth=1
	s_or_b32 exec_lo, exec_lo, s18
.LBB0_148:                              ;   in Loop: Header=BB0_106 Depth=1
	s_delay_alu instid0(SALU_CYCLE_1)
	s_or_b32 exec_lo, exec_lo, s17
.LBB0_149:                              ;   in Loop: Header=BB0_106 Depth=1
	s_or_saveexec_b32 s1, s1
	s_mov_b32 s17, 0
	s_xor_b32 exec_lo, exec_lo, s1
	s_cbranch_execz .LBB0_159
; %bb.150:                              ;   in Loop: Header=BB0_106 Depth=1
	v_mov_b64_e32 v[28:29], v[10:11]
	v_mov_b64_e32 v[26:27], v[20:21]
	s_mov_b32 s18, 0
	s_and_saveexec_b32 s17, s2
	s_cbranch_execz .LBB0_158
; %bb.151:                              ;   in Loop: Header=BB0_106 Depth=1
	s_mov_b32 s18, exec_lo
                                        ; implicit-def: $sgpr2
                                        ; implicit-def: $vgpr26_vgpr27
	v_cmpx_ngt_f64_e32 0, v[20:21]
	s_xor_b32 s18, exec_lo, s18
	s_cbranch_execz .LBB0_155
; %bb.152:                              ;   in Loop: Header=BB0_106 Depth=1
	v_mov_b64_e32 v[26:27], 0x7ff0000000000000
	s_mov_b32 s2, 0
	s_mov_b32 s19, exec_lo
	v_cmpx_ngt_f64_e32 0, v[10:11]
	s_cbranch_execz .LBB0_154
; %bb.153:                              ;   in Loop: Header=BB0_106 Depth=1
	v_div_scale_f64 v[4:5], null, v[22:23], v[22:23], v[10:11]
	s_mov_b32 s2, exec_lo
	v_rcp_f64_e32 v[6:7], v[4:5]
	v_nop
	s_delay_alu instid0(TRANS32_DEP_1) | instskip(NEXT) | instid1(VALU_DEP_1)
	v_fma_f64 v[26:27], -v[4:5], v[6:7], 1.0
	v_fmac_f64_e32 v[6:7], v[6:7], v[26:27]
	s_delay_alu instid0(VALU_DEP_1) | instskip(NEXT) | instid1(VALU_DEP_1)
	v_fma_f64 v[26:27], -v[4:5], v[6:7], 1.0
	v_fmac_f64_e32 v[6:7], v[6:7], v[26:27]
	v_div_scale_f64 v[26:27], vcc_lo, v[10:11], v[22:23], v[10:11]
	s_delay_alu instid0(VALU_DEP_1) | instskip(NEXT) | instid1(VALU_DEP_1)
	v_mul_f64_e32 v[28:29], v[26:27], v[6:7]
	v_fma_f64 v[4:5], -v[4:5], v[28:29], v[26:27]
	s_delay_alu instid0(VALU_DEP_1) | instskip(NEXT) | instid1(VALU_DEP_1)
	v_div_fmas_f64 v[4:5], v[4:5], v[6:7], v[28:29]
	v_div_fixup_f64 v[26:27], v[4:5], v[22:23], v[10:11]
.LBB0_154:                              ;   in Loop: Header=BB0_106 Depth=1
	s_or_b32 exec_lo, exec_lo, s19
.LBB0_155:                              ;   in Loop: Header=BB0_106 Depth=1
	s_and_not1_saveexec_b32 s18, s18
	s_cbranch_execz .LBB0_157
; %bb.156:                              ;   in Loop: Header=BB0_106 Depth=1
	v_div_scale_f64 v[4:5], null, v[24:25], v[24:25], v[20:21]
	s_or_b32 s2, s2, exec_lo
	v_rcp_f64_e32 v[6:7], v[4:5]
	v_nop
	s_delay_alu instid0(TRANS32_DEP_1) | instskip(NEXT) | instid1(VALU_DEP_1)
	v_fma_f64 v[26:27], -v[4:5], v[6:7], 1.0
	v_fmac_f64_e32 v[6:7], v[6:7], v[26:27]
	s_delay_alu instid0(VALU_DEP_1) | instskip(NEXT) | instid1(VALU_DEP_1)
	v_fma_f64 v[26:27], -v[4:5], v[6:7], 1.0
	v_fmac_f64_e32 v[6:7], v[6:7], v[26:27]
	v_div_scale_f64 v[26:27], vcc_lo, v[20:21], v[24:25], v[20:21]
	s_delay_alu instid0(VALU_DEP_1) | instskip(NEXT) | instid1(VALU_DEP_1)
	v_mul_f64_e32 v[28:29], v[26:27], v[6:7]
	v_fma_f64 v[4:5], -v[4:5], v[28:29], v[26:27]
	s_delay_alu instid0(VALU_DEP_1) | instskip(NEXT) | instid1(VALU_DEP_1)
	v_div_fmas_f64 v[4:5], v[4:5], v[6:7], v[28:29]
	v_div_fixup_f64 v[26:27], v[4:5], v[24:25], v[20:21]
.LBB0_157:                              ;   in Loop: Header=BB0_106 Depth=1
	s_or_b32 exec_lo, exec_lo, s18
	v_mov_b64_e32 v[28:29], 0xfff0000000000000
	s_and_b32 s18, s2, exec_lo
.LBB0_158:                              ;   in Loop: Header=BB0_106 Depth=1
	s_or_b32 exec_lo, exec_lo, s17
	s_delay_alu instid0(SALU_CYCLE_1)
	s_and_b32 s17, s18, exec_lo
.LBB0_159:                              ;   in Loop: Header=BB0_106 Depth=1
	s_or_b32 exec_lo, exec_lo, s1
	s_delay_alu instid0(SALU_CYCLE_1)
	s_and_b32 s2, s17, exec_lo
.LBB0_160:                              ;   in Loop: Header=BB0_106 Depth=1
	s_or_b32 exec_lo, exec_lo, s16
.LBB0_161:                              ;   in Loop: Header=BB0_106 Depth=1
	s_and_not1_saveexec_b32 s15, s15
	s_cbranch_execz .LBB0_167
; %bb.162:                              ;   in Loop: Header=BB0_106 Depth=1
	v_mov_b64_e32 v[6:7], v[24:25]
	v_mov_b64_e32 v[4:5], v[22:23]
	s_mov_b32 s16, exec_lo
	v_cmp_gt_f64_e32 vcc_lo, 0, v[24:25]
	v_cmpx_ngt_f64_e32 0, v[20:21]
	s_cbranch_execz .LBB0_166
; %bb.163:                              ;   in Loop: Header=BB0_106 Depth=1
	v_mov_b64_e32 v[4:5], v[24:25]
	v_mov_b64_e32 v[6:7], v[22:23]
	s_mov_b32 s17, exec_lo
	v_cmpx_gt_f64_e32 0, v[10:11]
; %bb.164:                              ;   in Loop: Header=BB0_106 Depth=1
	v_dual_cndmask_b32 v5, v23, v25 :: v_dual_cndmask_b32 v4, v22, v24
	s_delay_alu instid0(VALU_DEP_1)
	v_mov_b64_e32 v[6:7], v[4:5]
; %bb.165:                              ;   in Loop: Header=BB0_106 Depth=1
	s_or_b32 exec_lo, exec_lo, s17
.LBB0_166:                              ;   in Loop: Header=BB0_106 Depth=1
	s_delay_alu instid0(SALU_CYCLE_1) | instskip(SKIP_3) | instid1(VALU_DEP_2)
	s_or_b32 exec_lo, exec_lo, s16
	v_dual_cndmask_b32 v27, v11, v21 :: v_dual_cndmask_b32 v26, v10, v20
	v_dual_cndmask_b32 v37, v21, v11 :: v_dual_cndmask_b32 v36, v20, v10
	s_and_not1_b32 s2, s2, exec_lo
	v_div_scale_f64 v[28:29], null, v[4:5], v[4:5], v[26:27]
	s_delay_alu instid0(VALU_DEP_2) | instskip(SKIP_1) | instid1(VALU_DEP_3)
	v_div_scale_f64 v[38:39], null, v[6:7], v[6:7], v[36:37]
	v_div_scale_f64 v[48:49], vcc_lo, v[26:27], v[4:5], v[26:27]
	v_rcp_f64_e32 v[40:41], v[28:29]
	s_delay_alu instid0(VALU_DEP_2) | instskip(NEXT) | instid1(TRANS32_DEP_2)
	v_rcp_f64_e32 v[42:43], v[38:39]
	v_fma_f64 v[44:45], -v[28:29], v[40:41], 1.0
	s_delay_alu instid0(TRANS32_DEP_1) | instskip(NEXT) | instid1(VALU_DEP_2)
	v_fma_f64 v[46:47], -v[38:39], v[42:43], 1.0
	v_fmac_f64_e32 v[40:41], v[40:41], v[44:45]
	s_delay_alu instid0(VALU_DEP_2) | instskip(NEXT) | instid1(VALU_DEP_2)
	v_fmac_f64_e32 v[42:43], v[42:43], v[46:47]
	v_fma_f64 v[44:45], -v[28:29], v[40:41], 1.0
	s_delay_alu instid0(VALU_DEP_2) | instskip(NEXT) | instid1(VALU_DEP_2)
	v_fma_f64 v[46:47], -v[38:39], v[42:43], 1.0
	v_fmac_f64_e32 v[40:41], v[40:41], v[44:45]
	v_div_scale_f64 v[44:45], s1, v[36:37], v[6:7], v[36:37]
	s_delay_alu instid0(VALU_DEP_3) | instskip(NEXT) | instid1(VALU_DEP_3)
	v_fmac_f64_e32 v[42:43], v[42:43], v[46:47]
	v_mul_f64_e32 v[46:47], v[48:49], v[40:41]
	s_delay_alu instid0(VALU_DEP_2) | instskip(NEXT) | instid1(VALU_DEP_2)
	v_mul_f64_e32 v[50:51], v[44:45], v[42:43]
	v_fma_f64 v[28:29], -v[28:29], v[46:47], v[48:49]
	s_delay_alu instid0(VALU_DEP_2) | instskip(NEXT) | instid1(VALU_DEP_2)
	v_fma_f64 v[38:39], -v[38:39], v[50:51], v[44:45]
	v_div_fmas_f64 v[28:29], v[28:29], v[40:41], v[46:47]
	s_mov_b32 vcc_lo, s1
	s_delay_alu instid0(VALU_DEP_2) | instskip(NEXT) | instid1(VALU_DEP_2)
	v_div_fmas_f64 v[38:39], v[38:39], v[42:43], v[50:51]
	v_div_fixup_f64 v[28:29], v[28:29], v[4:5], v[26:27]
	s_delay_alu instid0(VALU_DEP_2)
	v_div_fixup_f64 v[26:27], v[38:39], v[6:7], v[36:37]
.LBB0_167:                              ;   in Loop: Header=BB0_106 Depth=1
	s_or_b32 exec_lo, exec_lo, s15
	v_mov_b64_e32 v[6:7], 0x7ff8000000000000
	v_mov_b64_e32 v[4:5], 0x7ff8000000000000
	v_lshl_add_u32 v35, v33, 4, 0
	s_and_saveexec_b32 s1, s2
	s_cbranch_execz .LBB0_173
; %bb.168:                              ;   in Loop: Header=BB0_106 Depth=1
	s_mov_b32 s15, exec_lo
                                        ; implicit-def: $vgpr4_vgpr5
	v_cmpx_ngt_f64_e32 0, v[20:21]
	s_xor_b32 s15, exec_lo, s15
	s_cbranch_execz .LBB0_170
; %bb.169:                              ;   in Loop: Header=BB0_106 Depth=1
	v_div_scale_f64 v[4:5], null, v[24:25], v[24:25], v[10:11]
	s_delay_alu instid0(VALU_DEP_1) | instskip(SKIP_1) | instid1(TRANS32_DEP_1)
	v_rcp_f64_e32 v[6:7], v[4:5]
	v_nop
	v_fma_f64 v[20:21], -v[4:5], v[6:7], 1.0
	s_delay_alu instid0(VALU_DEP_1) | instskip(NEXT) | instid1(VALU_DEP_1)
	v_fmac_f64_e32 v[6:7], v[6:7], v[20:21]
	v_fma_f64 v[20:21], -v[4:5], v[6:7], 1.0
	s_delay_alu instid0(VALU_DEP_1) | instskip(SKIP_1) | instid1(VALU_DEP_1)
	v_fmac_f64_e32 v[6:7], v[6:7], v[20:21]
	v_div_scale_f64 v[20:21], vcc_lo, v[10:11], v[24:25], v[10:11]
	v_mul_f64_e32 v[22:23], v[20:21], v[6:7]
	s_delay_alu instid0(VALU_DEP_1) | instskip(NEXT) | instid1(VALU_DEP_1)
	v_fma_f64 v[4:5], -v[4:5], v[22:23], v[20:21]
                                        ; implicit-def: $vgpr20_vgpr21
	v_div_fmas_f64 v[4:5], v[4:5], v[6:7], v[22:23]
                                        ; implicit-def: $vgpr22_vgpr23
	s_delay_alu instid0(VALU_DEP_1)
	v_div_fixup_f64 v[4:5], v[4:5], v[24:25], v[10:11]
.LBB0_170:                              ;   in Loop: Header=BB0_106 Depth=1
	s_and_not1_saveexec_b32 s15, s15
	s_cbranch_execz .LBB0_172
; %bb.171:                              ;   in Loop: Header=BB0_106 Depth=1
	v_div_scale_f64 v[4:5], null, v[22:23], v[22:23], v[20:21]
	s_delay_alu instid0(VALU_DEP_1) | instskip(SKIP_1) | instid1(TRANS32_DEP_1)
	v_rcp_f64_e32 v[6:7], v[4:5]
	v_nop
	v_fma_f64 v[10:11], -v[4:5], v[6:7], 1.0
	s_delay_alu instid0(VALU_DEP_1) | instskip(NEXT) | instid1(VALU_DEP_1)
	v_fmac_f64_e32 v[6:7], v[6:7], v[10:11]
	v_fma_f64 v[10:11], -v[4:5], v[6:7], 1.0
	s_delay_alu instid0(VALU_DEP_1) | instskip(SKIP_1) | instid1(VALU_DEP_1)
	v_fmac_f64_e32 v[6:7], v[6:7], v[10:11]
	v_div_scale_f64 v[10:11], vcc_lo, v[20:21], v[22:23], v[20:21]
	v_mul_f64_e32 v[24:25], v[10:11], v[6:7]
	s_delay_alu instid0(VALU_DEP_1) | instskip(NEXT) | instid1(VALU_DEP_1)
	v_fma_f64 v[4:5], -v[4:5], v[24:25], v[10:11]
	v_div_fmas_f64 v[4:5], v[4:5], v[6:7], v[24:25]
	s_delay_alu instid0(VALU_DEP_1)
	v_div_fixup_f64 v[4:5], v[4:5], v[22:23], v[20:21]
.LBB0_172:                              ;   in Loop: Header=BB0_106 Depth=1
	s_or_b32 exec_lo, exec_lo, s15
	v_add_f64_e32 v[6:7], 0xfff00000, v[18:19]
	s_delay_alu instid0(VALU_DEP_2) | instskip(SKIP_2) | instid1(VALU_DEP_2)
	v_add_f64_e64 v[4:5], v[18:19], -v[4:5]
	v_max_num_f64_e32 v[10:11], v[0:1], v[0:1]
	v_max_num_f64_e32 v[20:21], v[2:3], v[2:3]
	;; [unrolled: 1-line block ×3, first 2 shown]
	s_delay_alu instid0(VALU_DEP_2) | instskip(NEXT) | instid1(VALU_DEP_1)
	v_min_num_f64_e32 v[10:11], v[4:5], v[20:21]
	v_cmp_nle_f64_e32 vcc_lo, v[6:7], v[10:11]
	v_cndmask_b32_e64 v5, v7, 0x7ff80000, vcc_lo
	v_cndmask_b32_e64 v4, v6, 0, vcc_lo
	;; [unrolled: 1-line block ×4, first 2 shown]
.LBB0_173:                              ;   in Loop: Header=BB0_106 Depth=1
	s_or_b32 exec_lo, exec_lo, s1
	s_delay_alu instid0(VALU_DEP_4) | instskip(SKIP_3) | instid1(VALU_DEP_2)
	v_add_f64_e64 v[10:11], v[18:19], -v[26:27]
	v_add_f64_e64 v[20:21], v[18:19], -v[28:29]
	v_max_num_f64_e32 v[22:23], v[0:1], v[0:1]
	v_max_num_f64_e32 v[24:25], v[2:3], v[2:3]
	;; [unrolled: 1-line block ×3, first 2 shown]
	s_delay_alu instid0(VALU_DEP_2) | instskip(SKIP_1) | instid1(VALU_DEP_2)
	v_min_num_f64_e32 v[20:21], v[20:21], v[24:25]
	v_mul_f64_e32 v[22:23], 0x3fefae1480000000, v[8:9]
	v_cmp_nle_f64_e32 vcc_lo, v[10:11], v[20:21]
	s_delay_alu instid0(VALU_DEP_2) | instskip(NEXT) | instid1(VALU_DEP_3)
	v_cndmask_b32_e64 v23, v23, 0, s0
	v_cndmask_b32_e64 v22, v22, 0, s0
	v_cndmask_b32_e64 v9, v11, 0x7ff80000, vcc_lo
	v_cndmask_b32_e64 v8, v10, 0, vcc_lo
	;; [unrolled: 1-line block ×4, first 2 shown]
	s_delay_alu instid0(VALU_DEP_1) | instskip(SKIP_1) | instid1(VALU_DEP_2)
	v_add_f64_e32 v[20:21], v[8:9], v[10:11]
	v_add_f64_e64 v[24:25], v[10:11], -v[8:9]
	v_cmp_o_f64_e32 vcc_lo, v[20:21], v[20:21]
	s_delay_alu instid0(VALU_DEP_2) | instskip(SKIP_1) | instid1(SALU_CYCLE_1)
	v_cmp_gt_f64_e64 s0, v[24:25], v[22:23]
	s_and_b32 s1, vcc_lo, s0
	s_xor_b32 s0, s1, -1
	s_delay_alu instid0(SALU_CYCLE_1)
	s_and_saveexec_b32 s15, s0
	s_cbranch_execz .LBB0_175
; %bb.174:                              ;   in Loop: Header=BB0_106 Depth=1
	v_add_f64_e32 v[24:25], v[4:5], v[6:7]
	v_add_f64_e64 v[26:27], v[6:7], -v[4:5]
	s_and_not1_b32 s1, s1, exec_lo
	s_delay_alu instid0(VALU_DEP_2) | instskip(NEXT) | instid1(VALU_DEP_2)
	v_cmp_o_f64_e32 vcc_lo, v[24:25], v[24:25]
	v_cmp_gt_f64_e64 s0, v[26:27], v[22:23]
	s_and_b32 s0, vcc_lo, s0
	s_delay_alu instid0(SALU_CYCLE_1) | instskip(NEXT) | instid1(SALU_CYCLE_1)
	s_and_b32 s0, s0, exec_lo
	s_or_b32 s1, s1, s0
.LBB0_175:                              ;   in Loop: Header=BB0_106 Depth=1
	s_or_b32 exec_lo, exec_lo, s15
	s_and_saveexec_b32 s0, s1
	s_cbranch_execz .LBB0_177
; %bb.176:                              ;   in Loop: Header=BB0_106 Depth=1
	v_add_f64_e32 v[20:21], v[0:1], v[18:19]
	v_mov_b64_e32 v[4:5], v[18:19]
	v_mov_b64_e32 v[6:7], v[2:3]
	;; [unrolled: 1-line block ×4, first 2 shown]
	s_or_b32 s2, s2, exec_lo
.LBB0_177:                              ;   in Loop: Header=BB0_106 Depth=1
	s_or_b32 exec_lo, exec_lo, s0
	s_delay_alu instid0(SALU_CYCLE_1)
	s_mov_b32 s0, exec_lo
	v_cmpx_o_f64_e32 v[20:21], v[20:21]
	s_cbranch_execz .LBB0_179
; %bb.178:                              ;   in Loop: Header=BB0_106 Depth=1
	v_mov_b32_e32 v34, v33
	scratch_store_b128 v35, v[8:11], off
.LBB0_179:                              ;   in Loop: Header=BB0_106 Depth=1
	s_wait_xcnt 0x0
	s_or_b32 exec_lo, exec_lo, s0
	v_add_f64_e32 v[0:1], v[4:5], v[6:7]
	s_delay_alu instid0(VALU_DEP_1) | instskip(SKIP_1) | instid1(SALU_CYCLE_1)
	v_cmp_o_f64_e32 vcc_lo, v[0:1], v[0:1]
	s_and_b32 s1, vcc_lo, s2
	s_and_saveexec_b32 s0, s1
	s_cbranch_execz .LBB0_104
; %bb.180:                              ;   in Loop: Header=BB0_106 Depth=1
	v_add_nc_u32_e32 v0, 1, v34
	scratch_store_b128 v34, v[4:7], off offset:16 scale_offset
	s_wait_xcnt 0x0
	v_mov_b32_e32 v34, v0
	s_branch .LBB0_104
.LBB0_181:
	s_or_b32 exec_lo, exec_lo, s3
	s_branch .LBB0_261
.LBB0_182:
	v_mov_b64_e32 v[4:5], -2.0
	s_wait_loadcnt 0x0
	v_dual_mov_b32 v0, s8 :: v_dual_mov_b32 v1, s9
	v_dual_mov_b32 v2, s10 :: v_dual_mov_b32 v3, s11
	;; [unrolled: 1-line block ×3, first 2 shown]
	s_delay_alu instid0(VALU_DEP_4)
	v_fmamk_f64 v[14:15], v[14:15], 0xbef00000, v[4:5]
	v_mov_b32_e32 v31, v30
	s_mov_b64 s[8:9], 0x3eb0c6f7a0000000
	s_mov_b32 s3, 0
	scratch_store_b128 off, v[0:3], off
	s_branch .LBB0_185
.LBB0_183:                              ;   in Loop: Header=BB0_185 Depth=1
	s_or_b32 exec_lo, exec_lo, s0
	v_dual_mov_b32 v6, v31 :: v_dual_mov_b32 v28, v29
.LBB0_184:                              ;   in Loop: Header=BB0_185 Depth=1
	s_or_b32 exec_lo, exec_lo, s10
	s_delay_alu instid0(VALU_DEP_1) | instskip(NEXT) | instid1(VALU_DEP_2)
	v_cmp_eq_u32_e32 vcc_lo, -1, v33
	v_dual_mov_b32 v29, v28 :: v_dual_mov_b32 v31, v6
	v_mov_b32_e32 v32, v33
	s_or_b32 s3, vcc_lo, s3
	s_delay_alu instid0(SALU_CYCLE_1)
	s_and_not1_b32 exec_lo, exec_lo, s3
	s_cbranch_execz .LBB0_260
.LBB0_185:                              ; =>This Inner Loop Header: Depth=1
	scratch_load_b128 v[0:3], v32, off scale_offset
	s_mov_b32 s1, 0
	s_mov_b32 s2, exec_lo
                                        ; implicit-def: $vgpr6
                                        ; implicit-def: $vgpr28
	s_wait_loadcnt 0x0
	v_add_f64_e32 v[4:5], v[0:1], v[2:3]
	v_add_f64_e64 v[8:9], v[2:3], -v[0:1]
	s_delay_alu instid0(VALU_DEP_2)
	v_cmp_u_f64_e64 s0, v[4:5], v[4:5]
	v_mul_f64_e32 v[16:17], 0.5, v[4:5]
	s_wait_xcnt 0x0
	v_cmpx_o_f64_e32 v[4:5], v[4:5]
	s_xor_b32 s2, exec_lo, s2
	s_cbranch_execnz .LBB0_188
; %bb.186:                              ;   in Loop: Header=BB0_185 Depth=1
	s_and_not1_saveexec_b32 s2, s2
	s_cbranch_execnz .LBB0_199
.LBB0_187:                              ;   in Loop: Header=BB0_185 Depth=1
	s_or_b32 exec_lo, exec_lo, s2
	v_add_nc_u32_e32 v33, -1, v32
	s_and_saveexec_b32 s10, s1
	s_cbranch_execz .LBB0_184
	s_branch .LBB0_200
.LBB0_188:                              ;   in Loop: Header=BB0_185 Depth=1
	v_mul_f64_e32 v[16:17], 0.5, v[4:5]
	s_mov_b32 s1, -1
	s_mov_b32 s11, 0
	s_mov_b32 s10, exec_lo
	s_delay_alu instid0(VALU_DEP_1) | instskip(NEXT) | instid1(VALU_DEP_1)
	v_mul_f64_e64 v[4:5], |v[16:17]|, s[8:9]
	v_cmpx_nle_f64_e32 v[8:9], v[4:5]
	s_cbranch_execz .LBB0_196
; %bb.189:                              ;   in Loop: Header=BB0_185 Depth=1
	v_add_f64_e32 v[18:19], -1.0, v[0:1]
	v_add_f64_e32 v[10:11], -1.0, v[2:3]
	s_mov_b32 s1, exec_lo
	s_delay_alu instid0(VALU_DEP_2) | instskip(NEXT) | instid1(VALU_DEP_2)
	v_mul_f64_e32 v[4:5], v[18:19], v[18:19]
	v_mul_f64_e32 v[6:7], v[10:11], v[10:11]
	v_cmpx_le_f64_e32 0, v[18:19]
	s_xor_b32 s1, exec_lo, s1
	s_cbranch_execz .LBB0_191
; %bb.190:                              ;   in Loop: Header=BB0_185 Depth=1
	v_mul_f64_e32 v[6:7], v[18:19], v[18:19]
	v_mul_f64_e32 v[4:5], v[10:11], v[10:11]
                                        ; implicit-def: $vgpr10_vgpr11
.LBB0_191:                              ;   in Loop: Header=BB0_185 Depth=1
	s_and_not1_saveexec_b32 s1, s1
	s_cbranch_execz .LBB0_195
; %bb.192:                              ;   in Loop: Header=BB0_185 Depth=1
	s_mov_b32 s11, exec_lo
	v_cmpx_ge_f64_e32 0, v[10:11]
	s_xor_b32 s11, exec_lo, s11
	s_delay_alu instid0(SALU_CYCLE_1)
	s_and_not1_saveexec_b32 s11, s11
	s_cbranch_execz .LBB0_194
; %bb.193:                              ;   in Loop: Header=BB0_185 Depth=1
	s_delay_alu instid0(VALU_DEP_2)
	v_max_num_f64_e32 v[4:5], v[4:5], v[6:7]
	v_mov_b64_e32 v[6:7], 0
.LBB0_194:                              ;   in Loop: Header=BB0_185 Depth=1
	s_or_b32 exec_lo, exec_lo, s11
.LBB0_195:                              ;   in Loop: Header=BB0_185 Depth=1
	s_delay_alu instid0(SALU_CYCLE_1) | instskip(SKIP_3) | instid1(VALU_DEP_1)
	s_or_b32 exec_lo, exec_lo, s1
	v_mul_f64_e32 v[10:11], v[12:13], v[0:1]
	v_mul_f64_e32 v[18:19], v[12:13], v[2:3]
	s_mov_b32 s11, exec_lo
	v_min_num_f64_e32 v[20:21], v[10:11], v[18:19]
	v_max_num_f64_e32 v[10:11], v[10:11], v[18:19]
	s_delay_alu instid0(VALU_DEP_2) | instskip(NEXT) | instid1(VALU_DEP_2)
	v_add_f64_e32 v[6:7], v[20:21], v[6:7]
	v_add_f64_e32 v[4:5], v[10:11], v[4:5]
	s_delay_alu instid0(VALU_DEP_1) | instskip(SKIP_1) | instid1(VALU_DEP_2)
	v_add_f64_e32 v[10:11], v[6:7], v[4:5]
	v_add_f64_e64 v[4:5], v[4:5], -v[6:7]
	v_cmp_u_f64_e32 vcc_lo, v[10:11], v[10:11]
	s_delay_alu instid0(VALU_DEP_2) | instskip(SKIP_1) | instid1(SALU_CYCLE_1)
	v_cmp_ge_f64_e64 s1, s[8:9], v[4:5]
	s_or_b32 s1, vcc_lo, s1
	s_or_not1_b32 s1, s1, exec_lo
.LBB0_196:                              ;   in Loop: Header=BB0_185 Depth=1
	s_or_b32 exec_lo, exec_lo, s10
                                        ; implicit-def: $vgpr6
                                        ; implicit-def: $vgpr28
	s_and_saveexec_b32 s10, s1
	s_delay_alu instid0(SALU_CYCLE_1)
	s_xor_b32 s1, exec_lo, s10
	s_cbranch_execz .LBB0_198
; %bb.197:                              ;   in Loop: Header=BB0_185 Depth=1
	v_add_nc_u32_e32 v6, 0x10000, v31
	s_and_not1_b32 s11, s11, exec_lo
	global_store_b128 v31, v[0:3], s[4:5] scale_offset
	v_mov_b32_e32 v28, v6
.LBB0_198:                              ;   in Loop: Header=BB0_185 Depth=1
	s_wait_xcnt 0x0
	s_or_b32 exec_lo, exec_lo, s1
	s_delay_alu instid0(SALU_CYCLE_1)
	s_and_b32 s1, s11, exec_lo
	s_and_not1_saveexec_b32 s2, s2
	s_cbranch_execz .LBB0_187
.LBB0_199:                              ;   in Loop: Header=BB0_185 Depth=1
	s_or_b32 s1, s1, exec_lo
	s_or_b32 exec_lo, exec_lo, s2
	v_add_nc_u32_e32 v33, -1, v32
	s_and_saveexec_b32 s10, s1
	s_cbranch_execz .LBB0_184
.LBB0_200:                              ;   in Loop: Header=BB0_185 Depth=1
	s_delay_alu instid0(VALU_DEP_3) | instskip(SKIP_1) | instid1(VALU_DEP_1)
	v_add_f64_e32 v[6:7], -1.0, v[16:17]
	s_mov_b32 s1, exec_lo
                                        ; implicit-def: $vgpr10_vgpr11
	v_mul_f64_e32 v[4:5], v[6:7], v[6:7]
	v_cmpx_le_f64_e32 0, v[6:7]
	s_xor_b32 s1, exec_lo, s1
; %bb.201:                              ;   in Loop: Header=BB0_185 Depth=1
	v_mul_f64_e32 v[10:11], v[6:7], v[6:7]
                                        ; implicit-def: $vgpr6_vgpr7
                                        ; implicit-def: $vgpr4_vgpr5
; %bb.202:                              ;   in Loop: Header=BB0_185 Depth=1
	s_or_saveexec_b32 s1, s1
	s_delay_alu instid0(VALU_DEP_1)
	v_mov_b64_e32 v[18:19], v[10:11]
	s_xor_b32 exec_lo, exec_lo, s1
	s_cbranch_execz .LBB0_204
; %bb.203:                              ;   in Loop: Header=BB0_185 Depth=1
	v_cmp_ge_f64_e32 vcc_lo, 0, v[6:7]
	v_mov_b64_e32 v[18:19], v[4:5]
	v_dual_cndmask_b32 v11, 0, v5 :: v_dual_cndmask_b32 v10, 0, v4
.LBB0_204:                              ;   in Loop: Header=BB0_185 Depth=1
	s_or_b32 exec_lo, exec_lo, s1
	v_add_f64_e32 v[4:5], v[0:1], v[0:1]
	v_add_f64_e32 v[6:7], v[2:3], v[2:3]
	s_delay_alu instid0(VALU_DEP_3) | instskip(NEXT) | instid1(VALU_DEP_4)
	v_fmac_f64_e32 v[10:11], v[12:13], v[16:17]
	v_fmac_f64_e32 v[18:19], v[12:13], v[16:17]
                                        ; implicit-def: $sgpr2
                                        ; implicit-def: $vgpr26_vgpr27
                                        ; implicit-def: $vgpr24_vgpr25
	s_delay_alu instid0(VALU_DEP_3) | instskip(SKIP_1) | instid1(VALU_DEP_2)
	v_min_num_f64_e32 v[20:21], v[4:5], v[6:7]
	v_max_num_f64_e32 v[4:5], v[4:5], v[6:7]
	v_add_f64_e32 v[20:21], v[14:15], v[20:21]
	s_delay_alu instid0(VALU_DEP_2) | instskip(NEXT) | instid1(VALU_DEP_2)
	v_add_f64_e32 v[22:23], v[14:15], v[4:5]
	v_cmp_ge_f64_e32 vcc_lo, 0, v[20:21]
	s_delay_alu instid0(VALU_DEP_2) | instskip(SKIP_1) | instid1(SALU_CYCLE_1)
	v_cmp_le_f64_e64 s1, 0, v[22:23]
	s_and_b32 s1, vcc_lo, s1
	s_and_saveexec_b32 s11, s1
	s_delay_alu instid0(SALU_CYCLE_1)
	s_xor_b32 s11, exec_lo, s11
	s_cbranch_execz .LBB0_240
; %bb.205:                              ;   in Loop: Header=BB0_185 Depth=1
	v_cmp_eq_f64_e64 s1, 0, v[22:23]
	s_mov_b32 s12, exec_lo
	v_cmp_neq_f64_e32 vcc_lo, 0, v[22:23]
                                        ; implicit-def: $vgpr26_vgpr27
                                        ; implicit-def: $vgpr24_vgpr25
	v_cmpx_eq_f64_e32 0, v[20:21]
	s_xor_b32 s12, exec_lo, s12
	s_cbranch_execz .LBB0_217
; %bb.206:                              ;   in Loop: Header=BB0_185 Depth=1
	v_mov_b64_e32 v[26:27], 0x7ff8000000000000
	v_mov_b64_e32 v[24:25], 0x7ff8000000000000
	s_and_saveexec_b32 s13, vcc_lo
	s_cbranch_execz .LBB0_216
; %bb.207:                              ;   in Loop: Header=BB0_185 Depth=1
	v_cmp_neq_f64_e32 vcc_lo, 0, v[10:11]
	v_cmp_neq_f64_e64 s2, 0, v[18:19]
	v_mov_b64_e32 v[26:27], v[10:11]
	v_mov_b64_e32 v[24:25], v[18:19]
	s_or_b32 s14, vcc_lo, s2
	s_delay_alu instid0(SALU_CYCLE_1)
	s_and_saveexec_b32 s2, s14
	s_cbranch_execz .LBB0_215
; %bb.208:                              ;   in Loop: Header=BB0_185 Depth=1
	s_mov_b32 s14, exec_lo
                                        ; implicit-def: $vgpr26_vgpr27
	v_cmpx_ngt_f64_e32 0, v[18:19]
	s_xor_b32 s14, exec_lo, s14
	s_cbranch_execz .LBB0_212
; %bb.209:                              ;   in Loop: Header=BB0_185 Depth=1
	v_mov_b64_e32 v[26:27], 0xfff0000000000000
	s_mov_b32 s15, exec_lo
	v_cmpx_ngt_f64_e32 0, v[10:11]
	s_cbranch_execz .LBB0_211
; %bb.210:                              ;   in Loop: Header=BB0_185 Depth=1
	v_div_scale_f64 v[4:5], null, v[22:23], v[22:23], v[10:11]
	s_delay_alu instid0(VALU_DEP_1) | instskip(SKIP_1) | instid1(TRANS32_DEP_1)
	v_rcp_f64_e32 v[6:7], v[4:5]
	v_nop
	v_fma_f64 v[24:25], -v[4:5], v[6:7], 1.0
	s_delay_alu instid0(VALU_DEP_1) | instskip(NEXT) | instid1(VALU_DEP_1)
	v_fmac_f64_e32 v[6:7], v[6:7], v[24:25]
	v_fma_f64 v[24:25], -v[4:5], v[6:7], 1.0
	s_delay_alu instid0(VALU_DEP_1) | instskip(SKIP_1) | instid1(VALU_DEP_1)
	v_fmac_f64_e32 v[6:7], v[6:7], v[24:25]
	v_div_scale_f64 v[24:25], vcc_lo, v[10:11], v[22:23], v[10:11]
	v_mul_f64_e32 v[26:27], v[24:25], v[6:7]
	s_delay_alu instid0(VALU_DEP_1) | instskip(NEXT) | instid1(VALU_DEP_1)
	v_fma_f64 v[4:5], -v[4:5], v[26:27], v[24:25]
	v_div_fmas_f64 v[4:5], v[4:5], v[6:7], v[26:27]
	s_delay_alu instid0(VALU_DEP_1)
	v_div_fixup_f64 v[26:27], v[4:5], v[22:23], v[10:11]
.LBB0_211:                              ;   in Loop: Header=BB0_185 Depth=1
	s_or_b32 exec_lo, exec_lo, s15
.LBB0_212:                              ;   in Loop: Header=BB0_185 Depth=1
	s_or_saveexec_b32 s14, s14
	v_mov_b64_e32 v[24:25], 0x7ff0000000000000
	s_xor_b32 exec_lo, exec_lo, s14
	s_cbranch_execz .LBB0_214
; %bb.213:                              ;   in Loop: Header=BB0_185 Depth=1
	v_div_scale_f64 v[4:5], null, v[22:23], v[22:23], v[18:19]
	s_delay_alu instid0(VALU_DEP_1) | instskip(SKIP_1) | instid1(TRANS32_DEP_1)
	v_rcp_f64_e32 v[6:7], v[4:5]
	v_nop
	v_fma_f64 v[24:25], -v[4:5], v[6:7], 1.0
	s_delay_alu instid0(VALU_DEP_1) | instskip(NEXT) | instid1(VALU_DEP_1)
	v_fmac_f64_e32 v[6:7], v[6:7], v[24:25]
	v_fma_f64 v[24:25], -v[4:5], v[6:7], 1.0
	s_delay_alu instid0(VALU_DEP_1) | instskip(SKIP_1) | instid1(VALU_DEP_1)
	v_fmac_f64_e32 v[6:7], v[6:7], v[24:25]
	v_div_scale_f64 v[24:25], vcc_lo, v[18:19], v[22:23], v[18:19]
	v_mul_f64_e32 v[26:27], v[24:25], v[6:7]
	s_delay_alu instid0(VALU_DEP_1) | instskip(NEXT) | instid1(VALU_DEP_1)
	v_fma_f64 v[4:5], -v[4:5], v[26:27], v[24:25]
	v_div_fmas_f64 v[4:5], v[4:5], v[6:7], v[26:27]
	v_mov_b64_e32 v[26:27], 0xfff0000000000000
	s_delay_alu instid0(VALU_DEP_2)
	v_div_fixup_f64 v[24:25], v[4:5], v[22:23], v[18:19]
.LBB0_214:                              ;   in Loop: Header=BB0_185 Depth=1
	s_or_b32 exec_lo, exec_lo, s14
.LBB0_215:                              ;   in Loop: Header=BB0_185 Depth=1
	s_delay_alu instid0(SALU_CYCLE_1)
	s_or_b32 exec_lo, exec_lo, s2
.LBB0_216:                              ;   in Loop: Header=BB0_185 Depth=1
	s_delay_alu instid0(SALU_CYCLE_1)
	s_or_b32 exec_lo, exec_lo, s13
.LBB0_217:                              ;   in Loop: Header=BB0_185 Depth=1
	s_or_saveexec_b32 s12, s12
	s_mov_b32 s2, 0
	s_xor_b32 exec_lo, exec_lo, s12
	s_cbranch_execz .LBB0_239
; %bb.218:                              ;   in Loop: Header=BB0_185 Depth=1
	v_cmp_neq_f64_e32 vcc_lo, 0, v[10:11]
	v_cmp_neq_f64_e64 s2, 0, v[18:19]
                                        ; implicit-def: $vgpr26_vgpr27
                                        ; implicit-def: $vgpr24_vgpr25
	s_or_b32 s2, vcc_lo, s2
	s_and_saveexec_b32 s13, s1
	s_delay_alu instid0(SALU_CYCLE_1)
	s_xor_b32 s1, exec_lo, s13
	s_cbranch_execz .LBB0_228
; %bb.219:                              ;   in Loop: Header=BB0_185 Depth=1
	v_mov_b64_e32 v[26:27], v[10:11]
	v_mov_b64_e32 v[24:25], v[18:19]
	s_and_saveexec_b32 s13, s2
	s_cbranch_execz .LBB0_227
; %bb.220:                              ;   in Loop: Header=BB0_185 Depth=1
	s_mov_b32 s14, exec_lo
                                        ; implicit-def: $vgpr24_vgpr25
	v_cmpx_ngt_f64_e32 0, v[18:19]
	s_xor_b32 s14, exec_lo, s14
	s_cbranch_execz .LBB0_224
; %bb.221:                              ;   in Loop: Header=BB0_185 Depth=1
	v_mov_b64_e32 v[24:25], 0x7ff0000000000000
	s_mov_b32 s15, exec_lo
	v_cmpx_ngt_f64_e32 0, v[10:11]
	s_cbranch_execz .LBB0_223
; %bb.222:                              ;   in Loop: Header=BB0_185 Depth=1
	v_div_scale_f64 v[4:5], null, v[20:21], v[20:21], v[10:11]
	s_delay_alu instid0(VALU_DEP_1) | instskip(SKIP_1) | instid1(TRANS32_DEP_1)
	v_rcp_f64_e32 v[6:7], v[4:5]
	v_nop
	v_fma_f64 v[24:25], -v[4:5], v[6:7], 1.0
	s_delay_alu instid0(VALU_DEP_1) | instskip(NEXT) | instid1(VALU_DEP_1)
	v_fmac_f64_e32 v[6:7], v[6:7], v[24:25]
	v_fma_f64 v[24:25], -v[4:5], v[6:7], 1.0
	s_delay_alu instid0(VALU_DEP_1) | instskip(SKIP_1) | instid1(VALU_DEP_1)
	v_fmac_f64_e32 v[6:7], v[6:7], v[24:25]
	v_div_scale_f64 v[24:25], vcc_lo, v[10:11], v[20:21], v[10:11]
	v_mul_f64_e32 v[26:27], v[24:25], v[6:7]
	s_delay_alu instid0(VALU_DEP_1) | instskip(NEXT) | instid1(VALU_DEP_1)
	v_fma_f64 v[4:5], -v[4:5], v[26:27], v[24:25]
	v_div_fmas_f64 v[4:5], v[4:5], v[6:7], v[26:27]
	s_delay_alu instid0(VALU_DEP_1)
	v_div_fixup_f64 v[24:25], v[4:5], v[20:21], v[10:11]
.LBB0_223:                              ;   in Loop: Header=BB0_185 Depth=1
	s_or_b32 exec_lo, exec_lo, s15
.LBB0_224:                              ;   in Loop: Header=BB0_185 Depth=1
	s_or_saveexec_b32 s14, s14
	v_mov_b64_e32 v[26:27], 0xfff0000000000000
	s_xor_b32 exec_lo, exec_lo, s14
	s_cbranch_execz .LBB0_226
; %bb.225:                              ;   in Loop: Header=BB0_185 Depth=1
	v_div_scale_f64 v[4:5], null, v[20:21], v[20:21], v[18:19]
	s_delay_alu instid0(VALU_DEP_1) | instskip(SKIP_1) | instid1(TRANS32_DEP_1)
	v_rcp_f64_e32 v[6:7], v[4:5]
	v_nop
	v_fma_f64 v[24:25], -v[4:5], v[6:7], 1.0
	s_delay_alu instid0(VALU_DEP_1) | instskip(NEXT) | instid1(VALU_DEP_1)
	v_fmac_f64_e32 v[6:7], v[6:7], v[24:25]
	v_fma_f64 v[24:25], -v[4:5], v[6:7], 1.0
	s_delay_alu instid0(VALU_DEP_1) | instskip(SKIP_1) | instid1(VALU_DEP_1)
	v_fmac_f64_e32 v[6:7], v[6:7], v[24:25]
	v_div_scale_f64 v[24:25], vcc_lo, v[18:19], v[20:21], v[18:19]
	v_mul_f64_e32 v[26:27], v[24:25], v[6:7]
	s_delay_alu instid0(VALU_DEP_1) | instskip(SKIP_1) | instid1(VALU_DEP_2)
	v_fma_f64 v[4:5], -v[4:5], v[26:27], v[24:25]
	v_mov_b64_e32 v[24:25], 0x7ff0000000000000
	v_div_fmas_f64 v[4:5], v[4:5], v[6:7], v[26:27]
	s_delay_alu instid0(VALU_DEP_1)
	v_div_fixup_f64 v[26:27], v[4:5], v[20:21], v[18:19]
.LBB0_226:                              ;   in Loop: Header=BB0_185 Depth=1
	s_or_b32 exec_lo, exec_lo, s14
.LBB0_227:                              ;   in Loop: Header=BB0_185 Depth=1
	s_delay_alu instid0(SALU_CYCLE_1)
	s_or_b32 exec_lo, exec_lo, s13
.LBB0_228:                              ;   in Loop: Header=BB0_185 Depth=1
	s_or_saveexec_b32 s1, s1
	s_mov_b32 s13, 0
	s_xor_b32 exec_lo, exec_lo, s1
	s_cbranch_execz .LBB0_238
; %bb.229:                              ;   in Loop: Header=BB0_185 Depth=1
	v_mov_b64_e32 v[26:27], v[10:11]
	v_mov_b64_e32 v[24:25], v[18:19]
	s_mov_b32 s14, 0
	s_and_saveexec_b32 s13, s2
	s_cbranch_execz .LBB0_237
; %bb.230:                              ;   in Loop: Header=BB0_185 Depth=1
	s_mov_b32 s14, exec_lo
                                        ; implicit-def: $sgpr2
                                        ; implicit-def: $vgpr24_vgpr25
	v_cmpx_ngt_f64_e32 0, v[18:19]
	s_xor_b32 s14, exec_lo, s14
	s_cbranch_execz .LBB0_234
; %bb.231:                              ;   in Loop: Header=BB0_185 Depth=1
	v_mov_b64_e32 v[24:25], 0x7ff0000000000000
	s_mov_b32 s2, 0
	s_mov_b32 s15, exec_lo
	v_cmpx_ngt_f64_e32 0, v[10:11]
	s_cbranch_execz .LBB0_233
; %bb.232:                              ;   in Loop: Header=BB0_185 Depth=1
	v_div_scale_f64 v[4:5], null, v[20:21], v[20:21], v[10:11]
	s_mov_b32 s2, exec_lo
	v_rcp_f64_e32 v[6:7], v[4:5]
	v_nop
	s_delay_alu instid0(TRANS32_DEP_1) | instskip(NEXT) | instid1(VALU_DEP_1)
	v_fma_f64 v[24:25], -v[4:5], v[6:7], 1.0
	v_fmac_f64_e32 v[6:7], v[6:7], v[24:25]
	s_delay_alu instid0(VALU_DEP_1) | instskip(NEXT) | instid1(VALU_DEP_1)
	v_fma_f64 v[24:25], -v[4:5], v[6:7], 1.0
	v_fmac_f64_e32 v[6:7], v[6:7], v[24:25]
	v_div_scale_f64 v[24:25], vcc_lo, v[10:11], v[20:21], v[10:11]
	s_delay_alu instid0(VALU_DEP_1) | instskip(NEXT) | instid1(VALU_DEP_1)
	v_mul_f64_e32 v[26:27], v[24:25], v[6:7]
	v_fma_f64 v[4:5], -v[4:5], v[26:27], v[24:25]
	s_delay_alu instid0(VALU_DEP_1) | instskip(NEXT) | instid1(VALU_DEP_1)
	v_div_fmas_f64 v[4:5], v[4:5], v[6:7], v[26:27]
	v_div_fixup_f64 v[24:25], v[4:5], v[20:21], v[10:11]
.LBB0_233:                              ;   in Loop: Header=BB0_185 Depth=1
	s_or_b32 exec_lo, exec_lo, s15
.LBB0_234:                              ;   in Loop: Header=BB0_185 Depth=1
	s_and_not1_saveexec_b32 s14, s14
	s_cbranch_execz .LBB0_236
; %bb.235:                              ;   in Loop: Header=BB0_185 Depth=1
	v_div_scale_f64 v[4:5], null, v[22:23], v[22:23], v[18:19]
	s_or_b32 s2, s2, exec_lo
	v_rcp_f64_e32 v[6:7], v[4:5]
	v_nop
	s_delay_alu instid0(TRANS32_DEP_1) | instskip(NEXT) | instid1(VALU_DEP_1)
	v_fma_f64 v[24:25], -v[4:5], v[6:7], 1.0
	v_fmac_f64_e32 v[6:7], v[6:7], v[24:25]
	s_delay_alu instid0(VALU_DEP_1) | instskip(NEXT) | instid1(VALU_DEP_1)
	v_fma_f64 v[24:25], -v[4:5], v[6:7], 1.0
	v_fmac_f64_e32 v[6:7], v[6:7], v[24:25]
	v_div_scale_f64 v[24:25], vcc_lo, v[18:19], v[22:23], v[18:19]
	s_delay_alu instid0(VALU_DEP_1) | instskip(NEXT) | instid1(VALU_DEP_1)
	v_mul_f64_e32 v[26:27], v[24:25], v[6:7]
	v_fma_f64 v[4:5], -v[4:5], v[26:27], v[24:25]
	s_delay_alu instid0(VALU_DEP_1) | instskip(NEXT) | instid1(VALU_DEP_1)
	v_div_fmas_f64 v[4:5], v[4:5], v[6:7], v[26:27]
	v_div_fixup_f64 v[24:25], v[4:5], v[22:23], v[18:19]
.LBB0_236:                              ;   in Loop: Header=BB0_185 Depth=1
	s_or_b32 exec_lo, exec_lo, s14
	v_mov_b64_e32 v[26:27], 0xfff0000000000000
	s_and_b32 s14, s2, exec_lo
.LBB0_237:                              ;   in Loop: Header=BB0_185 Depth=1
	s_or_b32 exec_lo, exec_lo, s13
	s_delay_alu instid0(SALU_CYCLE_1)
	s_and_b32 s13, s14, exec_lo
.LBB0_238:                              ;   in Loop: Header=BB0_185 Depth=1
	s_or_b32 exec_lo, exec_lo, s1
	s_delay_alu instid0(SALU_CYCLE_1)
	s_and_b32 s2, s13, exec_lo
.LBB0_239:                              ;   in Loop: Header=BB0_185 Depth=1
	s_or_b32 exec_lo, exec_lo, s12
.LBB0_240:                              ;   in Loop: Header=BB0_185 Depth=1
	s_and_not1_saveexec_b32 s11, s11
	s_cbranch_execz .LBB0_246
; %bb.241:                              ;   in Loop: Header=BB0_185 Depth=1
	v_mov_b64_e32 v[6:7], v[22:23]
	v_mov_b64_e32 v[4:5], v[20:21]
	s_mov_b32 s12, exec_lo
	v_cmp_gt_f64_e32 vcc_lo, 0, v[22:23]
	v_cmpx_ngt_f64_e32 0, v[18:19]
	s_cbranch_execz .LBB0_245
; %bb.242:                              ;   in Loop: Header=BB0_185 Depth=1
	v_mov_b64_e32 v[4:5], v[22:23]
	v_mov_b64_e32 v[6:7], v[20:21]
	s_mov_b32 s13, exec_lo
	v_cmpx_gt_f64_e32 0, v[10:11]
; %bb.243:                              ;   in Loop: Header=BB0_185 Depth=1
	v_dual_cndmask_b32 v5, v21, v23 :: v_dual_cndmask_b32 v4, v20, v22
	s_delay_alu instid0(VALU_DEP_1)
	v_mov_b64_e32 v[6:7], v[4:5]
; %bb.244:                              ;   in Loop: Header=BB0_185 Depth=1
	s_or_b32 exec_lo, exec_lo, s13
.LBB0_245:                              ;   in Loop: Header=BB0_185 Depth=1
	s_delay_alu instid0(SALU_CYCLE_1) | instskip(SKIP_3) | instid1(VALU_DEP_2)
	s_or_b32 exec_lo, exec_lo, s12
	v_dual_cndmask_b32 v25, v11, v19 :: v_dual_cndmask_b32 v24, v10, v18
	v_dual_cndmask_b32 v35, v19, v11 :: v_dual_cndmask_b32 v34, v18, v10
	s_and_not1_b32 s2, s2, exec_lo
	v_div_scale_f64 v[26:27], null, v[4:5], v[4:5], v[24:25]
	s_delay_alu instid0(VALU_DEP_2) | instskip(SKIP_1) | instid1(VALU_DEP_3)
	v_div_scale_f64 v[36:37], null, v[6:7], v[6:7], v[34:35]
	v_div_scale_f64 v[46:47], vcc_lo, v[24:25], v[4:5], v[24:25]
	v_rcp_f64_e32 v[38:39], v[26:27]
	s_delay_alu instid0(VALU_DEP_2) | instskip(NEXT) | instid1(TRANS32_DEP_2)
	v_rcp_f64_e32 v[40:41], v[36:37]
	v_fma_f64 v[42:43], -v[26:27], v[38:39], 1.0
	s_delay_alu instid0(TRANS32_DEP_1) | instskip(NEXT) | instid1(VALU_DEP_2)
	v_fma_f64 v[44:45], -v[36:37], v[40:41], 1.0
	v_fmac_f64_e32 v[38:39], v[38:39], v[42:43]
	s_delay_alu instid0(VALU_DEP_2) | instskip(NEXT) | instid1(VALU_DEP_2)
	v_fmac_f64_e32 v[40:41], v[40:41], v[44:45]
	v_fma_f64 v[42:43], -v[26:27], v[38:39], 1.0
	s_delay_alu instid0(VALU_DEP_2) | instskip(NEXT) | instid1(VALU_DEP_2)
	v_fma_f64 v[44:45], -v[36:37], v[40:41], 1.0
	v_fmac_f64_e32 v[38:39], v[38:39], v[42:43]
	v_div_scale_f64 v[42:43], s1, v[34:35], v[6:7], v[34:35]
	s_delay_alu instid0(VALU_DEP_3) | instskip(NEXT) | instid1(VALU_DEP_3)
	v_fmac_f64_e32 v[40:41], v[40:41], v[44:45]
	v_mul_f64_e32 v[44:45], v[46:47], v[38:39]
	s_delay_alu instid0(VALU_DEP_2) | instskip(NEXT) | instid1(VALU_DEP_2)
	v_mul_f64_e32 v[48:49], v[42:43], v[40:41]
	v_fma_f64 v[26:27], -v[26:27], v[44:45], v[46:47]
	s_delay_alu instid0(VALU_DEP_2) | instskip(NEXT) | instid1(VALU_DEP_2)
	v_fma_f64 v[36:37], -v[36:37], v[48:49], v[42:43]
	v_div_fmas_f64 v[26:27], v[26:27], v[38:39], v[44:45]
	s_mov_b32 vcc_lo, s1
	s_delay_alu instid0(VALU_DEP_2) | instskip(NEXT) | instid1(VALU_DEP_2)
	v_div_fmas_f64 v[36:37], v[36:37], v[40:41], v[48:49]
	v_div_fixup_f64 v[26:27], v[26:27], v[4:5], v[24:25]
	s_delay_alu instid0(VALU_DEP_2)
	v_div_fixup_f64 v[24:25], v[36:37], v[6:7], v[34:35]
.LBB0_246:                              ;   in Loop: Header=BB0_185 Depth=1
	s_or_b32 exec_lo, exec_lo, s11
	v_mov_b64_e32 v[6:7], 0x7ff8000000000000
	v_mov_b64_e32 v[4:5], 0x7ff8000000000000
	v_lshl_add_u32 v28, v32, 4, 0
	s_and_saveexec_b32 s1, s2
	s_cbranch_execz .LBB0_252
; %bb.247:                              ;   in Loop: Header=BB0_185 Depth=1
	s_mov_b32 s11, exec_lo
                                        ; implicit-def: $vgpr4_vgpr5
	v_cmpx_ngt_f64_e32 0, v[18:19]
	s_xor_b32 s11, exec_lo, s11
	s_cbranch_execz .LBB0_249
; %bb.248:                              ;   in Loop: Header=BB0_185 Depth=1
	v_div_scale_f64 v[4:5], null, v[22:23], v[22:23], v[10:11]
	s_delay_alu instid0(VALU_DEP_1) | instskip(SKIP_1) | instid1(TRANS32_DEP_1)
	v_rcp_f64_e32 v[6:7], v[4:5]
	v_nop
	v_fma_f64 v[18:19], -v[4:5], v[6:7], 1.0
	s_delay_alu instid0(VALU_DEP_1) | instskip(NEXT) | instid1(VALU_DEP_1)
	v_fmac_f64_e32 v[6:7], v[6:7], v[18:19]
	v_fma_f64 v[18:19], -v[4:5], v[6:7], 1.0
	s_delay_alu instid0(VALU_DEP_1) | instskip(SKIP_1) | instid1(VALU_DEP_1)
	v_fmac_f64_e32 v[6:7], v[6:7], v[18:19]
	v_div_scale_f64 v[18:19], vcc_lo, v[10:11], v[22:23], v[10:11]
	v_mul_f64_e32 v[20:21], v[18:19], v[6:7]
	s_delay_alu instid0(VALU_DEP_1) | instskip(NEXT) | instid1(VALU_DEP_1)
	v_fma_f64 v[4:5], -v[4:5], v[20:21], v[18:19]
                                        ; implicit-def: $vgpr18_vgpr19
	v_div_fmas_f64 v[4:5], v[4:5], v[6:7], v[20:21]
                                        ; implicit-def: $vgpr20_vgpr21
	s_delay_alu instid0(VALU_DEP_1)
	v_div_fixup_f64 v[4:5], v[4:5], v[22:23], v[10:11]
.LBB0_249:                              ;   in Loop: Header=BB0_185 Depth=1
	s_and_not1_saveexec_b32 s11, s11
	s_cbranch_execz .LBB0_251
; %bb.250:                              ;   in Loop: Header=BB0_185 Depth=1
	v_div_scale_f64 v[4:5], null, v[20:21], v[20:21], v[18:19]
	s_delay_alu instid0(VALU_DEP_1) | instskip(SKIP_1) | instid1(TRANS32_DEP_1)
	v_rcp_f64_e32 v[6:7], v[4:5]
	v_nop
	v_fma_f64 v[10:11], -v[4:5], v[6:7], 1.0
	s_delay_alu instid0(VALU_DEP_1) | instskip(NEXT) | instid1(VALU_DEP_1)
	v_fmac_f64_e32 v[6:7], v[6:7], v[10:11]
	v_fma_f64 v[10:11], -v[4:5], v[6:7], 1.0
	s_delay_alu instid0(VALU_DEP_1) | instskip(SKIP_1) | instid1(VALU_DEP_1)
	v_fmac_f64_e32 v[6:7], v[6:7], v[10:11]
	v_div_scale_f64 v[10:11], vcc_lo, v[18:19], v[20:21], v[18:19]
	v_mul_f64_e32 v[22:23], v[10:11], v[6:7]
	s_delay_alu instid0(VALU_DEP_1) | instskip(NEXT) | instid1(VALU_DEP_1)
	v_fma_f64 v[4:5], -v[4:5], v[22:23], v[10:11]
	v_div_fmas_f64 v[4:5], v[4:5], v[6:7], v[22:23]
	s_delay_alu instid0(VALU_DEP_1)
	v_div_fixup_f64 v[4:5], v[4:5], v[20:21], v[18:19]
.LBB0_251:                              ;   in Loop: Header=BB0_185 Depth=1
	s_or_b32 exec_lo, exec_lo, s11
	v_add_f64_e32 v[6:7], 0xfff00000, v[16:17]
	s_delay_alu instid0(VALU_DEP_2) | instskip(SKIP_2) | instid1(VALU_DEP_2)
	v_add_f64_e64 v[4:5], v[16:17], -v[4:5]
	v_max_num_f64_e32 v[10:11], v[0:1], v[0:1]
	v_max_num_f64_e32 v[18:19], v[2:3], v[2:3]
	;; [unrolled: 1-line block ×3, first 2 shown]
	s_delay_alu instid0(VALU_DEP_2) | instskip(NEXT) | instid1(VALU_DEP_1)
	v_min_num_f64_e32 v[10:11], v[4:5], v[18:19]
	v_cmp_nle_f64_e32 vcc_lo, v[6:7], v[10:11]
	v_cndmask_b32_e64 v5, v7, 0x7ff80000, vcc_lo
	v_cndmask_b32_e64 v4, v6, 0, vcc_lo
	;; [unrolled: 1-line block ×4, first 2 shown]
.LBB0_252:                              ;   in Loop: Header=BB0_185 Depth=1
	s_or_b32 exec_lo, exec_lo, s1
	s_delay_alu instid0(VALU_DEP_4) | instskip(SKIP_3) | instid1(VALU_DEP_2)
	v_add_f64_e64 v[10:11], v[16:17], -v[24:25]
	v_add_f64_e64 v[18:19], v[16:17], -v[26:27]
	v_max_num_f64_e32 v[20:21], v[0:1], v[0:1]
	v_max_num_f64_e32 v[22:23], v[2:3], v[2:3]
	;; [unrolled: 1-line block ×3, first 2 shown]
	s_delay_alu instid0(VALU_DEP_2) | instskip(SKIP_1) | instid1(VALU_DEP_2)
	v_min_num_f64_e32 v[18:19], v[18:19], v[22:23]
	v_mul_f64_e32 v[20:21], 0x3fefae1480000000, v[8:9]
	v_cmp_nle_f64_e32 vcc_lo, v[10:11], v[18:19]
	s_delay_alu instid0(VALU_DEP_2) | instskip(NEXT) | instid1(VALU_DEP_3)
	v_cndmask_b32_e64 v21, v21, 0, s0
	v_cndmask_b32_e64 v20, v20, 0, s0
	v_cndmask_b32_e64 v9, v11, 0x7ff80000, vcc_lo
	v_cndmask_b32_e64 v8, v10, 0, vcc_lo
	v_cndmask_b32_e64 v11, v19, 0x7ff80000, vcc_lo
	v_cndmask_b32_e64 v10, v18, 0, vcc_lo
	s_delay_alu instid0(VALU_DEP_1) | instskip(SKIP_1) | instid1(VALU_DEP_2)
	v_add_f64_e32 v[18:19], v[8:9], v[10:11]
	v_add_f64_e64 v[22:23], v[10:11], -v[8:9]
	v_cmp_o_f64_e32 vcc_lo, v[18:19], v[18:19]
	s_delay_alu instid0(VALU_DEP_2) | instskip(SKIP_1) | instid1(SALU_CYCLE_1)
	v_cmp_gt_f64_e64 s0, v[22:23], v[20:21]
	s_and_b32 s1, vcc_lo, s0
	s_xor_b32 s0, s1, -1
	s_delay_alu instid0(SALU_CYCLE_1)
	s_and_saveexec_b32 s11, s0
	s_cbranch_execz .LBB0_254
; %bb.253:                              ;   in Loop: Header=BB0_185 Depth=1
	v_add_f64_e32 v[22:23], v[4:5], v[6:7]
	v_add_f64_e64 v[24:25], v[6:7], -v[4:5]
	s_and_not1_b32 s1, s1, exec_lo
	s_delay_alu instid0(VALU_DEP_2) | instskip(NEXT) | instid1(VALU_DEP_2)
	v_cmp_o_f64_e32 vcc_lo, v[22:23], v[22:23]
	v_cmp_gt_f64_e64 s0, v[24:25], v[20:21]
	s_and_b32 s0, vcc_lo, s0
	s_delay_alu instid0(SALU_CYCLE_1) | instskip(NEXT) | instid1(SALU_CYCLE_1)
	s_and_b32 s0, s0, exec_lo
	s_or_b32 s1, s1, s0
.LBB0_254:                              ;   in Loop: Header=BB0_185 Depth=1
	s_or_b32 exec_lo, exec_lo, s11
	s_and_saveexec_b32 s0, s1
	s_cbranch_execz .LBB0_256
; %bb.255:                              ;   in Loop: Header=BB0_185 Depth=1
	v_add_f64_e32 v[18:19], v[0:1], v[16:17]
	v_mov_b64_e32 v[4:5], v[16:17]
	v_mov_b64_e32 v[6:7], v[2:3]
	;; [unrolled: 1-line block ×4, first 2 shown]
	s_or_b32 s2, s2, exec_lo
.LBB0_256:                              ;   in Loop: Header=BB0_185 Depth=1
	s_or_b32 exec_lo, exec_lo, s0
	s_delay_alu instid0(SALU_CYCLE_1)
	s_mov_b32 s0, exec_lo
	v_cmpx_o_f64_e32 v[18:19], v[18:19]
	s_cbranch_execz .LBB0_258
; %bb.257:                              ;   in Loop: Header=BB0_185 Depth=1
	v_mov_b32_e32 v33, v32
	scratch_store_b128 v28, v[8:11], off
.LBB0_258:                              ;   in Loop: Header=BB0_185 Depth=1
	s_wait_xcnt 0x0
	s_or_b32 exec_lo, exec_lo, s0
	v_add_f64_e32 v[0:1], v[4:5], v[6:7]
	s_delay_alu instid0(VALU_DEP_1) | instskip(SKIP_1) | instid1(SALU_CYCLE_1)
	v_cmp_o_f64_e32 vcc_lo, v[0:1], v[0:1]
	s_and_b32 s1, vcc_lo, s2
	s_and_saveexec_b32 s0, s1
	s_cbranch_execz .LBB0_183
; %bb.259:                              ;   in Loop: Header=BB0_185 Depth=1
	v_add_nc_u32_e32 v0, 1, v33
	scratch_store_b128 v33, v[4:7], off offset:16 scale_offset
	s_wait_xcnt 0x0
	v_mov_b32_e32 v33, v0
	s_branch .LBB0_183
.LBB0_260:
	s_or_b32 exec_lo, exec_lo, s3
.LBB0_261:
	s_wait_loadcnt 0x0
	v_ashrrev_i32_e32 v0, 31, v28
	s_delay_alu instid0(VALU_DEP_1) | instskip(NEXT) | instid1(VALU_DEP_1)
	v_lshrrev_b32_e32 v0, 16, v0
	v_add_nc_u32_e32 v0, v28, v0
	s_delay_alu instid0(VALU_DEP_1)
	v_ashrrev_i32_e32 v0, 16, v0
	global_store_b32 v30, v0, s[6:7] scale_offset
	s_endpgm
	.section	.rodata,"a",@progbits
	.p2align	6, 0x0
	.amdhsa_kernel _Z20test_interval_newtonIdEvP12interval_gpuIT_EPiS2_i
		.amdhsa_group_segment_fixed_size 0
		.amdhsa_private_segment_fixed_size 2064
		.amdhsa_kernarg_size 36
		.amdhsa_user_sgpr_count 2
		.amdhsa_user_sgpr_dispatch_ptr 0
		.amdhsa_user_sgpr_queue_ptr 0
		.amdhsa_user_sgpr_kernarg_segment_ptr 1
		.amdhsa_user_sgpr_dispatch_id 0
		.amdhsa_user_sgpr_kernarg_preload_length 0
		.amdhsa_user_sgpr_kernarg_preload_offset 0
		.amdhsa_user_sgpr_private_segment_size 0
		.amdhsa_wavefront_size32 1
		.amdhsa_uses_dynamic_stack 0
		.amdhsa_enable_private_segment 1
		.amdhsa_system_sgpr_workgroup_id_x 1
		.amdhsa_system_sgpr_workgroup_id_y 0
		.amdhsa_system_sgpr_workgroup_id_z 0
		.amdhsa_system_sgpr_workgroup_info 0
		.amdhsa_system_vgpr_workitem_id 0
		.amdhsa_next_free_vgpr 52
		.amdhsa_next_free_sgpr 24
		.amdhsa_named_barrier_count 0
		.amdhsa_reserve_vcc 1
		.amdhsa_float_round_mode_32 0
		.amdhsa_float_round_mode_16_64 0
		.amdhsa_float_denorm_mode_32 3
		.amdhsa_float_denorm_mode_16_64 3
		.amdhsa_fp16_overflow 0
		.amdhsa_memory_ordered 1
		.amdhsa_forward_progress 1
		.amdhsa_inst_pref_size 70
		.amdhsa_round_robin_scheduling 0
		.amdhsa_exception_fp_ieee_invalid_op 0
		.amdhsa_exception_fp_denorm_src 0
		.amdhsa_exception_fp_ieee_div_zero 0
		.amdhsa_exception_fp_ieee_overflow 0
		.amdhsa_exception_fp_ieee_underflow 0
		.amdhsa_exception_fp_ieee_inexact 0
		.amdhsa_exception_int_div_zero 0
	.end_amdhsa_kernel
	.section	.text._Z20test_interval_newtonIdEvP12interval_gpuIT_EPiS2_i,"axG",@progbits,_Z20test_interval_newtonIdEvP12interval_gpuIT_EPiS2_i,comdat
.Lfunc_end0:
	.size	_Z20test_interval_newtonIdEvP12interval_gpuIT_EPiS2_i, .Lfunc_end0-_Z20test_interval_newtonIdEvP12interval_gpuIT_EPiS2_i
                                        ; -- End function
	.set _Z20test_interval_newtonIdEvP12interval_gpuIT_EPiS2_i.num_vgpr, 52
	.set _Z20test_interval_newtonIdEvP12interval_gpuIT_EPiS2_i.num_agpr, 0
	.set _Z20test_interval_newtonIdEvP12interval_gpuIT_EPiS2_i.numbered_sgpr, 24
	.set _Z20test_interval_newtonIdEvP12interval_gpuIT_EPiS2_i.num_named_barrier, 0
	.set _Z20test_interval_newtonIdEvP12interval_gpuIT_EPiS2_i.private_seg_size, 2064
	.set _Z20test_interval_newtonIdEvP12interval_gpuIT_EPiS2_i.uses_vcc, 1
	.set _Z20test_interval_newtonIdEvP12interval_gpuIT_EPiS2_i.uses_flat_scratch, 0
	.set _Z20test_interval_newtonIdEvP12interval_gpuIT_EPiS2_i.has_dyn_sized_stack, 0
	.set _Z20test_interval_newtonIdEvP12interval_gpuIT_EPiS2_i.has_recursion, 0
	.set _Z20test_interval_newtonIdEvP12interval_gpuIT_EPiS2_i.has_indirect_call, 0
	.section	.AMDGPU.csdata,"",@progbits
; Kernel info:
; codeLenInByte = 8840
; TotalNumSgprs: 26
; NumVgprs: 52
; ScratchSize: 2064
; MemoryBound: 0
; FloatMode: 240
; IeeeMode: 1
; LDSByteSize: 0 bytes/workgroup (compile time only)
; SGPRBlocks: 0
; VGPRBlocks: 3
; NumSGPRsForWavesPerEU: 26
; NumVGPRsForWavesPerEU: 52
; NamedBarCnt: 0
; Occupancy: 16
; WaveLimiterHint : 0
; COMPUTE_PGM_RSRC2:SCRATCH_EN: 1
; COMPUTE_PGM_RSRC2:USER_SGPR: 2
; COMPUTE_PGM_RSRC2:TRAP_HANDLER: 0
; COMPUTE_PGM_RSRC2:TGID_X_EN: 1
; COMPUTE_PGM_RSRC2:TGID_Y_EN: 0
; COMPUTE_PGM_RSRC2:TGID_Z_EN: 0
; COMPUTE_PGM_RSRC2:TIDIG_COMP_CNT: 0
	.section	.AMDGPU.gpr_maximums,"",@progbits
	.set amdgpu.max_num_vgpr, 0
	.set amdgpu.max_num_agpr, 0
	.set amdgpu.max_num_sgpr, 0
	.section	.AMDGPU.csdata,"",@progbits
	.type	__hip_cuid_80aaa053f0cb82aa,@object ; @__hip_cuid_80aaa053f0cb82aa
	.section	.bss,"aw",@nobits
	.globl	__hip_cuid_80aaa053f0cb82aa
__hip_cuid_80aaa053f0cb82aa:
	.byte	0                               ; 0x0
	.size	__hip_cuid_80aaa053f0cb82aa, 1

	.ident	"AMD clang version 22.0.0git (https://github.com/RadeonOpenCompute/llvm-project roc-7.2.4 26084 f58b06dce1f9c15707c5f808fd002e18c2accf7e)"
	.section	".note.GNU-stack","",@progbits
	.addrsig
	.addrsig_sym __hip_cuid_80aaa053f0cb82aa
	.amdgpu_metadata
---
amdhsa.kernels:
  - .args:
      - .address_space:  global
        .offset:         0
        .size:           8
        .value_kind:     global_buffer
      - .address_space:  global
        .offset:         8
        .size:           8
        .value_kind:     global_buffer
      - .offset:         16
        .size:           16
        .value_kind:     by_value
      - .offset:         32
        .size:           4
        .value_kind:     by_value
    .group_segment_fixed_size: 0
    .kernarg_segment_align: 8
    .kernarg_segment_size: 36
    .language:       OpenCL C
    .language_version:
      - 2
      - 0
    .max_flat_workgroup_size: 1024
    .name:           _Z20test_interval_newtonIdEvP12interval_gpuIT_EPiS2_i
    .private_segment_fixed_size: 2064
    .sgpr_count:     26
    .sgpr_spill_count: 0
    .symbol:         _Z20test_interval_newtonIdEvP12interval_gpuIT_EPiS2_i.kd
    .uniform_work_group_size: 1
    .uses_dynamic_stack: false
    .vgpr_count:     52
    .vgpr_spill_count: 0
    .wavefront_size: 32
amdhsa.target:   amdgcn-amd-amdhsa--gfx1250
amdhsa.version:
  - 1
  - 2
...

	.end_amdgpu_metadata
